;; amdgpu-corpus repo=ROCm/rocThrust kind=compiled arch=gfx1250 opt=O3
	.amdgcn_target "amdgcn-amd-amdhsa--gfx1250"
	.amdhsa_code_object_version 6
	.section	.text._ZN7rocprim17ROCPRIM_400000_NS6detail17trampoline_kernelINS0_14default_configENS1_22reduce_config_selectorIfEEZNS1_11reduce_implILb1ES3_PfS7_fN6thrust23THRUST_200600_302600_NS4plusIfEEEE10hipError_tPvRmT1_T2_T3_mT4_P12ihipStream_tbEUlT_E0_NS1_11comp_targetILNS1_3genE0ELNS1_11target_archE4294967295ELNS1_3gpuE0ELNS1_3repE0EEENS1_30default_config_static_selectorELNS0_4arch9wavefront6targetE0EEEvSF_,"axG",@progbits,_ZN7rocprim17ROCPRIM_400000_NS6detail17trampoline_kernelINS0_14default_configENS1_22reduce_config_selectorIfEEZNS1_11reduce_implILb1ES3_PfS7_fN6thrust23THRUST_200600_302600_NS4plusIfEEEE10hipError_tPvRmT1_T2_T3_mT4_P12ihipStream_tbEUlT_E0_NS1_11comp_targetILNS1_3genE0ELNS1_11target_archE4294967295ELNS1_3gpuE0ELNS1_3repE0EEENS1_30default_config_static_selectorELNS0_4arch9wavefront6targetE0EEEvSF_,comdat
	.protected	_ZN7rocprim17ROCPRIM_400000_NS6detail17trampoline_kernelINS0_14default_configENS1_22reduce_config_selectorIfEEZNS1_11reduce_implILb1ES3_PfS7_fN6thrust23THRUST_200600_302600_NS4plusIfEEEE10hipError_tPvRmT1_T2_T3_mT4_P12ihipStream_tbEUlT_E0_NS1_11comp_targetILNS1_3genE0ELNS1_11target_archE4294967295ELNS1_3gpuE0ELNS1_3repE0EEENS1_30default_config_static_selectorELNS0_4arch9wavefront6targetE0EEEvSF_ ; -- Begin function _ZN7rocprim17ROCPRIM_400000_NS6detail17trampoline_kernelINS0_14default_configENS1_22reduce_config_selectorIfEEZNS1_11reduce_implILb1ES3_PfS7_fN6thrust23THRUST_200600_302600_NS4plusIfEEEE10hipError_tPvRmT1_T2_T3_mT4_P12ihipStream_tbEUlT_E0_NS1_11comp_targetILNS1_3genE0ELNS1_11target_archE4294967295ELNS1_3gpuE0ELNS1_3repE0EEENS1_30default_config_static_selectorELNS0_4arch9wavefront6targetE0EEEvSF_
	.globl	_ZN7rocprim17ROCPRIM_400000_NS6detail17trampoline_kernelINS0_14default_configENS1_22reduce_config_selectorIfEEZNS1_11reduce_implILb1ES3_PfS7_fN6thrust23THRUST_200600_302600_NS4plusIfEEEE10hipError_tPvRmT1_T2_T3_mT4_P12ihipStream_tbEUlT_E0_NS1_11comp_targetILNS1_3genE0ELNS1_11target_archE4294967295ELNS1_3gpuE0ELNS1_3repE0EEENS1_30default_config_static_selectorELNS0_4arch9wavefront6targetE0EEEvSF_
	.p2align	8
	.type	_ZN7rocprim17ROCPRIM_400000_NS6detail17trampoline_kernelINS0_14default_configENS1_22reduce_config_selectorIfEEZNS1_11reduce_implILb1ES3_PfS7_fN6thrust23THRUST_200600_302600_NS4plusIfEEEE10hipError_tPvRmT1_T2_T3_mT4_P12ihipStream_tbEUlT_E0_NS1_11comp_targetILNS1_3genE0ELNS1_11target_archE4294967295ELNS1_3gpuE0ELNS1_3repE0EEENS1_30default_config_static_selectorELNS0_4arch9wavefront6targetE0EEEvSF_,@function
_ZN7rocprim17ROCPRIM_400000_NS6detail17trampoline_kernelINS0_14default_configENS1_22reduce_config_selectorIfEEZNS1_11reduce_implILb1ES3_PfS7_fN6thrust23THRUST_200600_302600_NS4plusIfEEEE10hipError_tPvRmT1_T2_T3_mT4_P12ihipStream_tbEUlT_E0_NS1_11comp_targetILNS1_3genE0ELNS1_11target_archE4294967295ELNS1_3gpuE0ELNS1_3repE0EEENS1_30default_config_static_selectorELNS0_4arch9wavefront6targetE0EEEvSF_: ; @_ZN7rocprim17ROCPRIM_400000_NS6detail17trampoline_kernelINS0_14default_configENS1_22reduce_config_selectorIfEEZNS1_11reduce_implILb1ES3_PfS7_fN6thrust23THRUST_200600_302600_NS4plusIfEEEE10hipError_tPvRmT1_T2_T3_mT4_P12ihipStream_tbEUlT_E0_NS1_11comp_targetILNS1_3genE0ELNS1_11target_archE4294967295ELNS1_3gpuE0ELNS1_3repE0EEENS1_30default_config_static_selectorELNS0_4arch9wavefront6targetE0EEEvSF_
; %bb.0:
	s_clause 0x1
	s_load_b256 s[4:11], s[0:1], 0x0
	s_load_b128 s[12:15], s[0:1], 0x20
	s_bfe_u32 s2, ttmp6, 0x4000c
	s_and_b32 s16, ttmp6, 15
	s_add_co_i32 s2, s2, 1
	s_getreg_b32 s18, hwreg(HW_REG_IB_STS2, 6, 4)
	s_mul_i32 s2, ttmp9, s2
	s_mov_b32 s3, 0
	s_add_co_i32 s2, s16, s2
	v_mbcnt_lo_u32_b32 v1, -1, 0
	s_wait_kmcnt 0x0
	s_lshl_b64 s[16:17], s[6:7], 2
	s_cmp_eq_u32 s18, 0
	s_mov_b32 s7, s3
	s_cselect_b32 s6, ttmp9, s2
	s_add_nc_u64 s[4:5], s[4:5], s[16:17]
	s_lshl_b32 s2, s6, 10
	s_lshr_b64 s[16:17], s[8:9], 10
	s_lshl_b64 s[18:19], s[2:3], 2
	s_cmp_lg_u64 s[16:17], s[6:7]
	s_add_nc_u64 s[4:5], s[4:5], s[18:19]
	s_cbranch_scc0 .LBB0_6
; %bb.1:
	s_clause 0x3
	global_load_b32 v2, v0, s[4:5] scale_offset
	global_load_b32 v3, v0, s[4:5] offset:1024 scale_offset
	global_load_b32 v4, v0, s[4:5] offset:2048 scale_offset
	;; [unrolled: 1-line block ×3, first 2 shown]
	s_mov_b32 s3, exec_lo
	s_wait_loadcnt 0x2
	v_add_f32_e32 v2, v2, v3
	s_wait_loadcnt 0x1
	s_delay_alu instid0(VALU_DEP_1) | instskip(SKIP_1) | instid1(VALU_DEP_1)
	v_add_f32_e32 v2, v2, v4
	s_wait_loadcnt 0x0
	v_add_f32_e32 v2, v2, v5
	s_delay_alu instid0(VALU_DEP_1) | instskip(NEXT) | instid1(VALU_DEP_1)
	v_mov_b32_dpp v3, v2 quad_perm:[1,0,3,2] row_mask:0xf bank_mask:0xf
	v_add_f32_e32 v2, v2, v3
	s_delay_alu instid0(VALU_DEP_1) | instskip(NEXT) | instid1(VALU_DEP_1)
	v_mov_b32_dpp v3, v2 quad_perm:[2,3,0,1] row_mask:0xf bank_mask:0xf
	v_add_f32_e32 v2, v2, v3
	s_delay_alu instid0(VALU_DEP_1) | instskip(NEXT) | instid1(VALU_DEP_1)
	v_mov_b32_dpp v3, v2 row_ror:4 row_mask:0xf bank_mask:0xf
	v_add_f32_e32 v2, v2, v3
	s_delay_alu instid0(VALU_DEP_1) | instskip(NEXT) | instid1(VALU_DEP_1)
	v_mov_b32_dpp v3, v2 row_ror:8 row_mask:0xf bank_mask:0xf
	v_add_f32_e32 v2, v2, v3
	ds_swizzle_b32 v3, v2 offset:swizzle(BROADCAST,32,15)
	s_wait_dscnt 0x0
	v_dual_add_f32 v2, v2, v3 :: v_dual_mov_b32 v3, 0
	ds_bpermute_b32 v2, v3, v2 offset:124
	v_cmpx_eq_u32_e32 0, v1
	s_cbranch_execz .LBB0_3
; %bb.2:
	v_lshrrev_b32_e32 v3, 3, v0
	s_delay_alu instid0(VALU_DEP_1)
	v_and_b32_e32 v3, 28, v3
	s_wait_dscnt 0x0
	ds_store_b32 v3, v2
.LBB0_3:
	s_or_b32 exec_lo, exec_lo, s3
	s_delay_alu instid0(SALU_CYCLE_1)
	s_mov_b32 s3, exec_lo
	s_wait_dscnt 0x0
	s_barrier_signal -1
	s_barrier_wait -1
	v_cmpx_gt_u32_e32 32, v0
	s_cbranch_execz .LBB0_5
; %bb.4:
	v_and_b32_e32 v2, 7, v1
	s_delay_alu instid0(VALU_DEP_1) | instskip(SKIP_1) | instid1(VALU_DEP_1)
	v_cmp_ne_u32_e32 vcc_lo, 7, v2
	v_add_co_ci_u32_e64 v4, null, 0, v1, vcc_lo
	v_dual_lshlrev_b32 v4, 2, v4 :: v_dual_lshlrev_b32 v3, 2, v2
	v_cmp_gt_u32_e32 vcc_lo, 6, v2
	ds_load_b32 v3, v3
	v_cndmask_b32_e64 v2, 0, 2, vcc_lo
	s_delay_alu instid0(VALU_DEP_1)
	v_add_lshl_u32 v2, v2, v1, 2
	s_wait_dscnt 0x0
	ds_bpermute_b32 v4, v4, v3
	s_wait_dscnt 0x0
	v_dual_add_f32 v3, v3, v4 :: v_dual_lshlrev_b32 v4, 2, v1
	ds_bpermute_b32 v2, v2, v3
	s_wait_dscnt 0x0
	v_dual_add_f32 v2, v3, v2 :: v_dual_bitop2_b32 v3, 16, v4 bitop3:0x54
	ds_bpermute_b32 v3, v3, v2
	s_wait_dscnt 0x0
	v_add_f32_e32 v2, v2, v3
.LBB0_5:
	s_or_b32 exec_lo, exec_lo, s3
	s_branch .LBB0_20
.LBB0_6:
                                        ; implicit-def: $vgpr2
	s_cbranch_execz .LBB0_20
; %bb.7:
	v_mov_b32_e32 v2, 0
	s_sub_co_i32 s16, s8, s2
	s_mov_b32 s2, exec_lo
	s_delay_alu instid0(VALU_DEP_1)
	v_dual_mov_b32 v3, v2 :: v_dual_mov_b32 v4, v2
	v_mov_b32_e32 v5, v2
	v_cmpx_gt_u32_e64 s16, v0
	s_cbranch_execz .LBB0_9
; %bb.8:
	global_load_b32 v4, v0, s[4:5] scale_offset
	v_dual_mov_b32 v5, v2 :: v_dual_mov_b32 v6, v2
	v_mov_b32_e32 v7, v2
	s_wait_loadcnt 0x0
	s_delay_alu instid0(VALU_DEP_2) | instskip(NEXT) | instid1(VALU_DEP_2)
	v_mov_b64_e32 v[2:3], v[4:5]
	v_mov_b64_e32 v[4:5], v[6:7]
.LBB0_9:
	s_or_b32 exec_lo, exec_lo, s2
	v_or_b32_e32 v6, 0x100, v0
	s_delay_alu instid0(VALU_DEP_1)
	v_cmp_gt_u32_e32 vcc_lo, s16, v6
	s_and_saveexec_b32 s2, vcc_lo
	s_cbranch_execz .LBB0_11
; %bb.10:
	global_load_b32 v3, v0, s[4:5] offset:1024 scale_offset
.LBB0_11:
	s_wait_xcnt 0x0
	s_or_b32 exec_lo, exec_lo, s2
	v_or_b32_e32 v6, 0x200, v0
	s_delay_alu instid0(VALU_DEP_1)
	v_cmp_gt_u32_e64 s2, s16, v6
	s_and_saveexec_b32 s3, s2
	s_cbranch_execz .LBB0_13
; %bb.12:
	global_load_b32 v4, v0, s[4:5] offset:2048 scale_offset
.LBB0_13:
	s_wait_xcnt 0x0
	s_or_b32 exec_lo, exec_lo, s3
	v_or_b32_e32 v6, 0x300, v0
	s_delay_alu instid0(VALU_DEP_1)
	v_cmp_gt_u32_e64 s3, s16, v6
	s_and_saveexec_b32 s17, s3
	s_cbranch_execz .LBB0_15
; %bb.14:
	global_load_b32 v5, v0, s[4:5] offset:3072 scale_offset
.LBB0_15:
	s_wait_xcnt 0x0
	s_or_b32 exec_lo, exec_lo, s17
	s_wait_loadcnt 0x0
	v_dual_add_f32 v3, v2, v3 :: v_dual_add_nc_u32 v7, 2, v1
	s_delay_alu instid0(VALU_DEP_1) | instskip(SKIP_1) | instid1(VALU_DEP_2)
	v_cndmask_b32_e32 v2, v2, v3, vcc_lo
	v_cmp_ne_u32_e32 vcc_lo, 31, v1
	v_add_f32_e32 v3, v4, v2
	s_delay_alu instid0(VALU_DEP_1) | instskip(SKIP_3) | instid1(VALU_DEP_3)
	v_cndmask_b32_e64 v2, v2, v3, s2
	v_add_co_ci_u32_e64 v3, null, 0, v1, vcc_lo
	v_cmp_gt_u32_e32 vcc_lo, 30, v1
	v_cmp_gt_u32_e64 s2, 28, v1
	v_dual_add_f32 v4, v5, v2 :: v_dual_lshlrev_b32 v3, 2, v3
	v_add_nc_u32_e32 v5, 1, v1
	v_cndmask_b32_e64 v6, 0, 2, vcc_lo
	s_delay_alu instid0(VALU_DEP_3) | instskip(SKIP_2) | instid1(VALU_DEP_3)
	v_cndmask_b32_e64 v2, v2, v4, s3
	v_and_b32_e32 v4, 0xe0, v0
	s_min_u32 s3, s16, 0x100
	v_add_lshl_u32 v6, v6, v1, 2
	ds_bpermute_b32 v3, v3, v2
	v_sub_nc_u32_e64 v4, s3, v4 clamp
	s_delay_alu instid0(VALU_DEP_1) | instskip(SKIP_2) | instid1(VALU_DEP_1)
	v_cmp_lt_u32_e32 vcc_lo, v5, v4
	s_wait_dscnt 0x0
	v_add_f32_e32 v3, v2, v3
	v_cndmask_b32_e32 v3, v2, v3, vcc_lo
	ds_bpermute_b32 v5, v6, v3
	v_cndmask_b32_e64 v6, 0, 4, s2
	v_cmp_lt_u32_e64 s2, v7, v4
	v_add_nc_u32_e32 v7, 4, v1
	s_delay_alu instid0(VALU_DEP_3) | instskip(SKIP_2) | instid1(VALU_DEP_1)
	v_add_lshl_u32 v6, v6, v1, 2
	s_wait_dscnt 0x0
	v_add_f32_e32 v5, v3, v5
	v_cndmask_b32_e64 v3, v3, v5, s2
	v_cmp_gt_u32_e64 s2, 24, v1
	ds_bpermute_b32 v5, v6, v3
	v_cndmask_b32_e64 v6, 0, 8, s2
	v_cmp_lt_u32_e64 s2, v7, v4
	v_add_nc_u32_e32 v7, 8, v1
	s_delay_alu instid0(VALU_DEP_3) | instskip(SKIP_2) | instid1(VALU_DEP_1)
	v_add_lshl_u32 v6, v6, v1, 2
	s_wait_dscnt 0x0
	v_add_f32_e32 v5, v3, v5
	v_cndmask_b32_e64 v5, v3, v5, s2
	v_lshlrev_b32_e32 v3, 2, v1
	v_cmp_lt_u32_e64 s2, v7, v4
	v_add_nc_u32_e32 v7, 16, v1
	ds_bpermute_b32 v6, v6, v5
	s_wait_dscnt 0x0
	v_dual_add_f32 v6, v5, v6 :: v_dual_bitop2_b32 v8, 64, v3 bitop3:0x54
	s_delay_alu instid0(VALU_DEP_1) | instskip(SKIP_4) | instid1(VALU_DEP_1)
	v_cndmask_b32_e64 v5, v5, v6, s2
	v_cmp_lt_u32_e64 s2, v7, v4
	ds_bpermute_b32 v6, v8, v5
	s_wait_dscnt 0x0
	v_add_f32_e32 v6, v5, v6
	v_cndmask_b32_e64 v4, v5, v6, s2
	s_mov_b32 s2, exec_lo
	s_delay_alu instid0(VALU_DEP_1)
	v_cndmask_b32_e32 v2, v2, v4, vcc_lo
	v_cmpx_eq_u32_e32 0, v1
; %bb.16:
	v_lshrrev_b32_e32 v4, 3, v0
	s_delay_alu instid0(VALU_DEP_1)
	v_and_b32_e32 v4, 28, v4
	ds_store_b32 v4, v2 offset:32
; %bb.17:
	s_or_b32 exec_lo, exec_lo, s2
	s_delay_alu instid0(SALU_CYCLE_1)
	s_mov_b32 s4, exec_lo
	s_wait_dscnt 0x0
	s_barrier_signal -1
	s_barrier_wait -1
	v_cmpx_gt_u32_e32 8, v0
	s_cbranch_execz .LBB0_19
; %bb.18:
	ds_load_b32 v2, v3 offset:32
	v_and_b32_e32 v4, 7, v1
	s_add_co_i32 s3, s3, 31
	v_or_b32_e32 v3, 16, v3
	s_lshr_b32 s3, s3, 5
	s_delay_alu instid0(VALU_DEP_2) | instskip(SKIP_3) | instid1(VALU_DEP_2)
	v_cmp_ne_u32_e32 vcc_lo, 7, v4
	v_add_nc_u32_e32 v7, 1, v4
	v_add_co_ci_u32_e64 v5, null, 0, v1, vcc_lo
	v_cmp_gt_u32_e32 vcc_lo, 6, v4
	v_lshlrev_b32_e32 v5, 2, v5
	v_cndmask_b32_e64 v6, 0, 2, vcc_lo
	v_cmp_gt_u32_e32 vcc_lo, s3, v7
	s_wait_dscnt 0x0
	ds_bpermute_b32 v5, v5, v2
	v_add_lshl_u32 v1, v6, v1, 2
	s_wait_dscnt 0x0
	v_add_f32_e32 v5, v2, v5
	s_delay_alu instid0(VALU_DEP_1) | instskip(SKIP_4) | instid1(VALU_DEP_2)
	v_cndmask_b32_e32 v5, v2, v5, vcc_lo
	ds_bpermute_b32 v1, v1, v5
	s_wait_dscnt 0x0
	v_dual_add_f32 v1, v5, v1 :: v_dual_add_nc_u32 v6, 2, v4
	v_add_nc_u32_e32 v4, 4, v4
	v_cmp_gt_u32_e64 s2, s3, v6
	s_delay_alu instid0(VALU_DEP_1) | instskip(NEXT) | instid1(VALU_DEP_3)
	v_cndmask_b32_e64 v1, v5, v1, s2
	v_cmp_gt_u32_e64 s2, s3, v4
	ds_bpermute_b32 v3, v3, v1
	s_wait_dscnt 0x0
	v_add_f32_e32 v3, v1, v3
	s_delay_alu instid0(VALU_DEP_1) | instskip(NEXT) | instid1(VALU_DEP_1)
	v_cndmask_b32_e64 v1, v1, v3, s2
	v_cndmask_b32_e32 v2, v2, v1, vcc_lo
.LBB0_19:
	s_or_b32 exec_lo, exec_lo, s4
.LBB0_20:
	s_load_b32 s0, s[0:1], 0x30
	s_wait_xcnt 0x0
	s_mov_b32 s1, exec_lo
	v_cmpx_eq_u32_e32 0, v0
	s_cbranch_execz .LBB0_22
; %bb.21:
	s_mul_u64 s[2:3], s[14:15], s[12:13]
	v_mov_b32_e32 v1, 0
	s_lshl_b64 s[2:3], s[2:3], 2
	s_cmp_eq_u64 s[8:9], 0
	s_add_nc_u64 s[2:3], s[10:11], s[2:3]
	s_cselect_b32 s1, -1, 0
	s_wait_kmcnt 0x0
	v_cndmask_b32_e64 v0, v2, s0, s1
	s_lshl_b64 s[0:1], s[6:7], 2
	s_delay_alu instid0(SALU_CYCLE_1)
	s_add_nc_u64 s[0:1], s[2:3], s[0:1]
	global_store_b32 v1, v0, s[0:1]
.LBB0_22:
	s_endpgm
	.section	.rodata,"a",@progbits
	.p2align	6, 0x0
	.amdhsa_kernel _ZN7rocprim17ROCPRIM_400000_NS6detail17trampoline_kernelINS0_14default_configENS1_22reduce_config_selectorIfEEZNS1_11reduce_implILb1ES3_PfS7_fN6thrust23THRUST_200600_302600_NS4plusIfEEEE10hipError_tPvRmT1_T2_T3_mT4_P12ihipStream_tbEUlT_E0_NS1_11comp_targetILNS1_3genE0ELNS1_11target_archE4294967295ELNS1_3gpuE0ELNS1_3repE0EEENS1_30default_config_static_selectorELNS0_4arch9wavefront6targetE0EEEvSF_
		.amdhsa_group_segment_fixed_size 64
		.amdhsa_private_segment_fixed_size 0
		.amdhsa_kernarg_size 56
		.amdhsa_user_sgpr_count 2
		.amdhsa_user_sgpr_dispatch_ptr 0
		.amdhsa_user_sgpr_queue_ptr 0
		.amdhsa_user_sgpr_kernarg_segment_ptr 1
		.amdhsa_user_sgpr_dispatch_id 0
		.amdhsa_user_sgpr_kernarg_preload_length 0
		.amdhsa_user_sgpr_kernarg_preload_offset 0
		.amdhsa_user_sgpr_private_segment_size 0
		.amdhsa_wavefront_size32 1
		.amdhsa_uses_dynamic_stack 0
		.amdhsa_enable_private_segment 0
		.amdhsa_system_sgpr_workgroup_id_x 1
		.amdhsa_system_sgpr_workgroup_id_y 0
		.amdhsa_system_sgpr_workgroup_id_z 0
		.amdhsa_system_sgpr_workgroup_info 0
		.amdhsa_system_vgpr_workitem_id 0
		.amdhsa_next_free_vgpr 9
		.amdhsa_next_free_sgpr 20
		.amdhsa_named_barrier_count 0
		.amdhsa_reserve_vcc 1
		.amdhsa_float_round_mode_32 0
		.amdhsa_float_round_mode_16_64 0
		.amdhsa_float_denorm_mode_32 3
		.amdhsa_float_denorm_mode_16_64 3
		.amdhsa_fp16_overflow 0
		.amdhsa_memory_ordered 1
		.amdhsa_forward_progress 1
		.amdhsa_inst_pref_size 12
		.amdhsa_round_robin_scheduling 0
		.amdhsa_exception_fp_ieee_invalid_op 0
		.amdhsa_exception_fp_denorm_src 0
		.amdhsa_exception_fp_ieee_div_zero 0
		.amdhsa_exception_fp_ieee_overflow 0
		.amdhsa_exception_fp_ieee_underflow 0
		.amdhsa_exception_fp_ieee_inexact 0
		.amdhsa_exception_int_div_zero 0
	.end_amdhsa_kernel
	.section	.text._ZN7rocprim17ROCPRIM_400000_NS6detail17trampoline_kernelINS0_14default_configENS1_22reduce_config_selectorIfEEZNS1_11reduce_implILb1ES3_PfS7_fN6thrust23THRUST_200600_302600_NS4plusIfEEEE10hipError_tPvRmT1_T2_T3_mT4_P12ihipStream_tbEUlT_E0_NS1_11comp_targetILNS1_3genE0ELNS1_11target_archE4294967295ELNS1_3gpuE0ELNS1_3repE0EEENS1_30default_config_static_selectorELNS0_4arch9wavefront6targetE0EEEvSF_,"axG",@progbits,_ZN7rocprim17ROCPRIM_400000_NS6detail17trampoline_kernelINS0_14default_configENS1_22reduce_config_selectorIfEEZNS1_11reduce_implILb1ES3_PfS7_fN6thrust23THRUST_200600_302600_NS4plusIfEEEE10hipError_tPvRmT1_T2_T3_mT4_P12ihipStream_tbEUlT_E0_NS1_11comp_targetILNS1_3genE0ELNS1_11target_archE4294967295ELNS1_3gpuE0ELNS1_3repE0EEENS1_30default_config_static_selectorELNS0_4arch9wavefront6targetE0EEEvSF_,comdat
.Lfunc_end0:
	.size	_ZN7rocprim17ROCPRIM_400000_NS6detail17trampoline_kernelINS0_14default_configENS1_22reduce_config_selectorIfEEZNS1_11reduce_implILb1ES3_PfS7_fN6thrust23THRUST_200600_302600_NS4plusIfEEEE10hipError_tPvRmT1_T2_T3_mT4_P12ihipStream_tbEUlT_E0_NS1_11comp_targetILNS1_3genE0ELNS1_11target_archE4294967295ELNS1_3gpuE0ELNS1_3repE0EEENS1_30default_config_static_selectorELNS0_4arch9wavefront6targetE0EEEvSF_, .Lfunc_end0-_ZN7rocprim17ROCPRIM_400000_NS6detail17trampoline_kernelINS0_14default_configENS1_22reduce_config_selectorIfEEZNS1_11reduce_implILb1ES3_PfS7_fN6thrust23THRUST_200600_302600_NS4plusIfEEEE10hipError_tPvRmT1_T2_T3_mT4_P12ihipStream_tbEUlT_E0_NS1_11comp_targetILNS1_3genE0ELNS1_11target_archE4294967295ELNS1_3gpuE0ELNS1_3repE0EEENS1_30default_config_static_selectorELNS0_4arch9wavefront6targetE0EEEvSF_
                                        ; -- End function
	.set _ZN7rocprim17ROCPRIM_400000_NS6detail17trampoline_kernelINS0_14default_configENS1_22reduce_config_selectorIfEEZNS1_11reduce_implILb1ES3_PfS7_fN6thrust23THRUST_200600_302600_NS4plusIfEEEE10hipError_tPvRmT1_T2_T3_mT4_P12ihipStream_tbEUlT_E0_NS1_11comp_targetILNS1_3genE0ELNS1_11target_archE4294967295ELNS1_3gpuE0ELNS1_3repE0EEENS1_30default_config_static_selectorELNS0_4arch9wavefront6targetE0EEEvSF_.num_vgpr, 9
	.set _ZN7rocprim17ROCPRIM_400000_NS6detail17trampoline_kernelINS0_14default_configENS1_22reduce_config_selectorIfEEZNS1_11reduce_implILb1ES3_PfS7_fN6thrust23THRUST_200600_302600_NS4plusIfEEEE10hipError_tPvRmT1_T2_T3_mT4_P12ihipStream_tbEUlT_E0_NS1_11comp_targetILNS1_3genE0ELNS1_11target_archE4294967295ELNS1_3gpuE0ELNS1_3repE0EEENS1_30default_config_static_selectorELNS0_4arch9wavefront6targetE0EEEvSF_.num_agpr, 0
	.set _ZN7rocprim17ROCPRIM_400000_NS6detail17trampoline_kernelINS0_14default_configENS1_22reduce_config_selectorIfEEZNS1_11reduce_implILb1ES3_PfS7_fN6thrust23THRUST_200600_302600_NS4plusIfEEEE10hipError_tPvRmT1_T2_T3_mT4_P12ihipStream_tbEUlT_E0_NS1_11comp_targetILNS1_3genE0ELNS1_11target_archE4294967295ELNS1_3gpuE0ELNS1_3repE0EEENS1_30default_config_static_selectorELNS0_4arch9wavefront6targetE0EEEvSF_.numbered_sgpr, 20
	.set _ZN7rocprim17ROCPRIM_400000_NS6detail17trampoline_kernelINS0_14default_configENS1_22reduce_config_selectorIfEEZNS1_11reduce_implILb1ES3_PfS7_fN6thrust23THRUST_200600_302600_NS4plusIfEEEE10hipError_tPvRmT1_T2_T3_mT4_P12ihipStream_tbEUlT_E0_NS1_11comp_targetILNS1_3genE0ELNS1_11target_archE4294967295ELNS1_3gpuE0ELNS1_3repE0EEENS1_30default_config_static_selectorELNS0_4arch9wavefront6targetE0EEEvSF_.num_named_barrier, 0
	.set _ZN7rocprim17ROCPRIM_400000_NS6detail17trampoline_kernelINS0_14default_configENS1_22reduce_config_selectorIfEEZNS1_11reduce_implILb1ES3_PfS7_fN6thrust23THRUST_200600_302600_NS4plusIfEEEE10hipError_tPvRmT1_T2_T3_mT4_P12ihipStream_tbEUlT_E0_NS1_11comp_targetILNS1_3genE0ELNS1_11target_archE4294967295ELNS1_3gpuE0ELNS1_3repE0EEENS1_30default_config_static_selectorELNS0_4arch9wavefront6targetE0EEEvSF_.private_seg_size, 0
	.set _ZN7rocprim17ROCPRIM_400000_NS6detail17trampoline_kernelINS0_14default_configENS1_22reduce_config_selectorIfEEZNS1_11reduce_implILb1ES3_PfS7_fN6thrust23THRUST_200600_302600_NS4plusIfEEEE10hipError_tPvRmT1_T2_T3_mT4_P12ihipStream_tbEUlT_E0_NS1_11comp_targetILNS1_3genE0ELNS1_11target_archE4294967295ELNS1_3gpuE0ELNS1_3repE0EEENS1_30default_config_static_selectorELNS0_4arch9wavefront6targetE0EEEvSF_.uses_vcc, 1
	.set _ZN7rocprim17ROCPRIM_400000_NS6detail17trampoline_kernelINS0_14default_configENS1_22reduce_config_selectorIfEEZNS1_11reduce_implILb1ES3_PfS7_fN6thrust23THRUST_200600_302600_NS4plusIfEEEE10hipError_tPvRmT1_T2_T3_mT4_P12ihipStream_tbEUlT_E0_NS1_11comp_targetILNS1_3genE0ELNS1_11target_archE4294967295ELNS1_3gpuE0ELNS1_3repE0EEENS1_30default_config_static_selectorELNS0_4arch9wavefront6targetE0EEEvSF_.uses_flat_scratch, 0
	.set _ZN7rocprim17ROCPRIM_400000_NS6detail17trampoline_kernelINS0_14default_configENS1_22reduce_config_selectorIfEEZNS1_11reduce_implILb1ES3_PfS7_fN6thrust23THRUST_200600_302600_NS4plusIfEEEE10hipError_tPvRmT1_T2_T3_mT4_P12ihipStream_tbEUlT_E0_NS1_11comp_targetILNS1_3genE0ELNS1_11target_archE4294967295ELNS1_3gpuE0ELNS1_3repE0EEENS1_30default_config_static_selectorELNS0_4arch9wavefront6targetE0EEEvSF_.has_dyn_sized_stack, 0
	.set _ZN7rocprim17ROCPRIM_400000_NS6detail17trampoline_kernelINS0_14default_configENS1_22reduce_config_selectorIfEEZNS1_11reduce_implILb1ES3_PfS7_fN6thrust23THRUST_200600_302600_NS4plusIfEEEE10hipError_tPvRmT1_T2_T3_mT4_P12ihipStream_tbEUlT_E0_NS1_11comp_targetILNS1_3genE0ELNS1_11target_archE4294967295ELNS1_3gpuE0ELNS1_3repE0EEENS1_30default_config_static_selectorELNS0_4arch9wavefront6targetE0EEEvSF_.has_recursion, 0
	.set _ZN7rocprim17ROCPRIM_400000_NS6detail17trampoline_kernelINS0_14default_configENS1_22reduce_config_selectorIfEEZNS1_11reduce_implILb1ES3_PfS7_fN6thrust23THRUST_200600_302600_NS4plusIfEEEE10hipError_tPvRmT1_T2_T3_mT4_P12ihipStream_tbEUlT_E0_NS1_11comp_targetILNS1_3genE0ELNS1_11target_archE4294967295ELNS1_3gpuE0ELNS1_3repE0EEENS1_30default_config_static_selectorELNS0_4arch9wavefront6targetE0EEEvSF_.has_indirect_call, 0
	.section	.AMDGPU.csdata,"",@progbits
; Kernel info:
; codeLenInByte = 1416
; TotalNumSgprs: 22
; NumVgprs: 9
; ScratchSize: 0
; MemoryBound: 0
; FloatMode: 240
; IeeeMode: 1
; LDSByteSize: 64 bytes/workgroup (compile time only)
; SGPRBlocks: 0
; VGPRBlocks: 0
; NumSGPRsForWavesPerEU: 22
; NumVGPRsForWavesPerEU: 9
; NamedBarCnt: 0
; Occupancy: 16
; WaveLimiterHint : 1
; COMPUTE_PGM_RSRC2:SCRATCH_EN: 0
; COMPUTE_PGM_RSRC2:USER_SGPR: 2
; COMPUTE_PGM_RSRC2:TRAP_HANDLER: 0
; COMPUTE_PGM_RSRC2:TGID_X_EN: 1
; COMPUTE_PGM_RSRC2:TGID_Y_EN: 0
; COMPUTE_PGM_RSRC2:TGID_Z_EN: 0
; COMPUTE_PGM_RSRC2:TIDIG_COMP_CNT: 0
	.section	.text._ZN7rocprim17ROCPRIM_400000_NS6detail17trampoline_kernelINS0_14default_configENS1_22reduce_config_selectorIfEEZNS1_11reduce_implILb1ES3_PfS7_fN6thrust23THRUST_200600_302600_NS4plusIfEEEE10hipError_tPvRmT1_T2_T3_mT4_P12ihipStream_tbEUlT_E0_NS1_11comp_targetILNS1_3genE5ELNS1_11target_archE942ELNS1_3gpuE9ELNS1_3repE0EEENS1_30default_config_static_selectorELNS0_4arch9wavefront6targetE0EEEvSF_,"axG",@progbits,_ZN7rocprim17ROCPRIM_400000_NS6detail17trampoline_kernelINS0_14default_configENS1_22reduce_config_selectorIfEEZNS1_11reduce_implILb1ES3_PfS7_fN6thrust23THRUST_200600_302600_NS4plusIfEEEE10hipError_tPvRmT1_T2_T3_mT4_P12ihipStream_tbEUlT_E0_NS1_11comp_targetILNS1_3genE5ELNS1_11target_archE942ELNS1_3gpuE9ELNS1_3repE0EEENS1_30default_config_static_selectorELNS0_4arch9wavefront6targetE0EEEvSF_,comdat
	.protected	_ZN7rocprim17ROCPRIM_400000_NS6detail17trampoline_kernelINS0_14default_configENS1_22reduce_config_selectorIfEEZNS1_11reduce_implILb1ES3_PfS7_fN6thrust23THRUST_200600_302600_NS4plusIfEEEE10hipError_tPvRmT1_T2_T3_mT4_P12ihipStream_tbEUlT_E0_NS1_11comp_targetILNS1_3genE5ELNS1_11target_archE942ELNS1_3gpuE9ELNS1_3repE0EEENS1_30default_config_static_selectorELNS0_4arch9wavefront6targetE0EEEvSF_ ; -- Begin function _ZN7rocprim17ROCPRIM_400000_NS6detail17trampoline_kernelINS0_14default_configENS1_22reduce_config_selectorIfEEZNS1_11reduce_implILb1ES3_PfS7_fN6thrust23THRUST_200600_302600_NS4plusIfEEEE10hipError_tPvRmT1_T2_T3_mT4_P12ihipStream_tbEUlT_E0_NS1_11comp_targetILNS1_3genE5ELNS1_11target_archE942ELNS1_3gpuE9ELNS1_3repE0EEENS1_30default_config_static_selectorELNS0_4arch9wavefront6targetE0EEEvSF_
	.globl	_ZN7rocprim17ROCPRIM_400000_NS6detail17trampoline_kernelINS0_14default_configENS1_22reduce_config_selectorIfEEZNS1_11reduce_implILb1ES3_PfS7_fN6thrust23THRUST_200600_302600_NS4plusIfEEEE10hipError_tPvRmT1_T2_T3_mT4_P12ihipStream_tbEUlT_E0_NS1_11comp_targetILNS1_3genE5ELNS1_11target_archE942ELNS1_3gpuE9ELNS1_3repE0EEENS1_30default_config_static_selectorELNS0_4arch9wavefront6targetE0EEEvSF_
	.p2align	8
	.type	_ZN7rocprim17ROCPRIM_400000_NS6detail17trampoline_kernelINS0_14default_configENS1_22reduce_config_selectorIfEEZNS1_11reduce_implILb1ES3_PfS7_fN6thrust23THRUST_200600_302600_NS4plusIfEEEE10hipError_tPvRmT1_T2_T3_mT4_P12ihipStream_tbEUlT_E0_NS1_11comp_targetILNS1_3genE5ELNS1_11target_archE942ELNS1_3gpuE9ELNS1_3repE0EEENS1_30default_config_static_selectorELNS0_4arch9wavefront6targetE0EEEvSF_,@function
_ZN7rocprim17ROCPRIM_400000_NS6detail17trampoline_kernelINS0_14default_configENS1_22reduce_config_selectorIfEEZNS1_11reduce_implILb1ES3_PfS7_fN6thrust23THRUST_200600_302600_NS4plusIfEEEE10hipError_tPvRmT1_T2_T3_mT4_P12ihipStream_tbEUlT_E0_NS1_11comp_targetILNS1_3genE5ELNS1_11target_archE942ELNS1_3gpuE9ELNS1_3repE0EEENS1_30default_config_static_selectorELNS0_4arch9wavefront6targetE0EEEvSF_: ; @_ZN7rocprim17ROCPRIM_400000_NS6detail17trampoline_kernelINS0_14default_configENS1_22reduce_config_selectorIfEEZNS1_11reduce_implILb1ES3_PfS7_fN6thrust23THRUST_200600_302600_NS4plusIfEEEE10hipError_tPvRmT1_T2_T3_mT4_P12ihipStream_tbEUlT_E0_NS1_11comp_targetILNS1_3genE5ELNS1_11target_archE942ELNS1_3gpuE9ELNS1_3repE0EEENS1_30default_config_static_selectorELNS0_4arch9wavefront6targetE0EEEvSF_
; %bb.0:
	.section	.rodata,"a",@progbits
	.p2align	6, 0x0
	.amdhsa_kernel _ZN7rocprim17ROCPRIM_400000_NS6detail17trampoline_kernelINS0_14default_configENS1_22reduce_config_selectorIfEEZNS1_11reduce_implILb1ES3_PfS7_fN6thrust23THRUST_200600_302600_NS4plusIfEEEE10hipError_tPvRmT1_T2_T3_mT4_P12ihipStream_tbEUlT_E0_NS1_11comp_targetILNS1_3genE5ELNS1_11target_archE942ELNS1_3gpuE9ELNS1_3repE0EEENS1_30default_config_static_selectorELNS0_4arch9wavefront6targetE0EEEvSF_
		.amdhsa_group_segment_fixed_size 0
		.amdhsa_private_segment_fixed_size 0
		.amdhsa_kernarg_size 56
		.amdhsa_user_sgpr_count 2
		.amdhsa_user_sgpr_dispatch_ptr 0
		.amdhsa_user_sgpr_queue_ptr 0
		.amdhsa_user_sgpr_kernarg_segment_ptr 1
		.amdhsa_user_sgpr_dispatch_id 0
		.amdhsa_user_sgpr_kernarg_preload_length 0
		.amdhsa_user_sgpr_kernarg_preload_offset 0
		.amdhsa_user_sgpr_private_segment_size 0
		.amdhsa_wavefront_size32 1
		.amdhsa_uses_dynamic_stack 0
		.amdhsa_enable_private_segment 0
		.amdhsa_system_sgpr_workgroup_id_x 1
		.amdhsa_system_sgpr_workgroup_id_y 0
		.amdhsa_system_sgpr_workgroup_id_z 0
		.amdhsa_system_sgpr_workgroup_info 0
		.amdhsa_system_vgpr_workitem_id 0
		.amdhsa_next_free_vgpr 1
		.amdhsa_next_free_sgpr 1
		.amdhsa_named_barrier_count 0
		.amdhsa_reserve_vcc 0
		.amdhsa_float_round_mode_32 0
		.amdhsa_float_round_mode_16_64 0
		.amdhsa_float_denorm_mode_32 3
		.amdhsa_float_denorm_mode_16_64 3
		.amdhsa_fp16_overflow 0
		.amdhsa_memory_ordered 1
		.amdhsa_forward_progress 1
		.amdhsa_inst_pref_size 0
		.amdhsa_round_robin_scheduling 0
		.amdhsa_exception_fp_ieee_invalid_op 0
		.amdhsa_exception_fp_denorm_src 0
		.amdhsa_exception_fp_ieee_div_zero 0
		.amdhsa_exception_fp_ieee_overflow 0
		.amdhsa_exception_fp_ieee_underflow 0
		.amdhsa_exception_fp_ieee_inexact 0
		.amdhsa_exception_int_div_zero 0
	.end_amdhsa_kernel
	.section	.text._ZN7rocprim17ROCPRIM_400000_NS6detail17trampoline_kernelINS0_14default_configENS1_22reduce_config_selectorIfEEZNS1_11reduce_implILb1ES3_PfS7_fN6thrust23THRUST_200600_302600_NS4plusIfEEEE10hipError_tPvRmT1_T2_T3_mT4_P12ihipStream_tbEUlT_E0_NS1_11comp_targetILNS1_3genE5ELNS1_11target_archE942ELNS1_3gpuE9ELNS1_3repE0EEENS1_30default_config_static_selectorELNS0_4arch9wavefront6targetE0EEEvSF_,"axG",@progbits,_ZN7rocprim17ROCPRIM_400000_NS6detail17trampoline_kernelINS0_14default_configENS1_22reduce_config_selectorIfEEZNS1_11reduce_implILb1ES3_PfS7_fN6thrust23THRUST_200600_302600_NS4plusIfEEEE10hipError_tPvRmT1_T2_T3_mT4_P12ihipStream_tbEUlT_E0_NS1_11comp_targetILNS1_3genE5ELNS1_11target_archE942ELNS1_3gpuE9ELNS1_3repE0EEENS1_30default_config_static_selectorELNS0_4arch9wavefront6targetE0EEEvSF_,comdat
.Lfunc_end1:
	.size	_ZN7rocprim17ROCPRIM_400000_NS6detail17trampoline_kernelINS0_14default_configENS1_22reduce_config_selectorIfEEZNS1_11reduce_implILb1ES3_PfS7_fN6thrust23THRUST_200600_302600_NS4plusIfEEEE10hipError_tPvRmT1_T2_T3_mT4_P12ihipStream_tbEUlT_E0_NS1_11comp_targetILNS1_3genE5ELNS1_11target_archE942ELNS1_3gpuE9ELNS1_3repE0EEENS1_30default_config_static_selectorELNS0_4arch9wavefront6targetE0EEEvSF_, .Lfunc_end1-_ZN7rocprim17ROCPRIM_400000_NS6detail17trampoline_kernelINS0_14default_configENS1_22reduce_config_selectorIfEEZNS1_11reduce_implILb1ES3_PfS7_fN6thrust23THRUST_200600_302600_NS4plusIfEEEE10hipError_tPvRmT1_T2_T3_mT4_P12ihipStream_tbEUlT_E0_NS1_11comp_targetILNS1_3genE5ELNS1_11target_archE942ELNS1_3gpuE9ELNS1_3repE0EEENS1_30default_config_static_selectorELNS0_4arch9wavefront6targetE0EEEvSF_
                                        ; -- End function
	.set _ZN7rocprim17ROCPRIM_400000_NS6detail17trampoline_kernelINS0_14default_configENS1_22reduce_config_selectorIfEEZNS1_11reduce_implILb1ES3_PfS7_fN6thrust23THRUST_200600_302600_NS4plusIfEEEE10hipError_tPvRmT1_T2_T3_mT4_P12ihipStream_tbEUlT_E0_NS1_11comp_targetILNS1_3genE5ELNS1_11target_archE942ELNS1_3gpuE9ELNS1_3repE0EEENS1_30default_config_static_selectorELNS0_4arch9wavefront6targetE0EEEvSF_.num_vgpr, 0
	.set _ZN7rocprim17ROCPRIM_400000_NS6detail17trampoline_kernelINS0_14default_configENS1_22reduce_config_selectorIfEEZNS1_11reduce_implILb1ES3_PfS7_fN6thrust23THRUST_200600_302600_NS4plusIfEEEE10hipError_tPvRmT1_T2_T3_mT4_P12ihipStream_tbEUlT_E0_NS1_11comp_targetILNS1_3genE5ELNS1_11target_archE942ELNS1_3gpuE9ELNS1_3repE0EEENS1_30default_config_static_selectorELNS0_4arch9wavefront6targetE0EEEvSF_.num_agpr, 0
	.set _ZN7rocprim17ROCPRIM_400000_NS6detail17trampoline_kernelINS0_14default_configENS1_22reduce_config_selectorIfEEZNS1_11reduce_implILb1ES3_PfS7_fN6thrust23THRUST_200600_302600_NS4plusIfEEEE10hipError_tPvRmT1_T2_T3_mT4_P12ihipStream_tbEUlT_E0_NS1_11comp_targetILNS1_3genE5ELNS1_11target_archE942ELNS1_3gpuE9ELNS1_3repE0EEENS1_30default_config_static_selectorELNS0_4arch9wavefront6targetE0EEEvSF_.numbered_sgpr, 0
	.set _ZN7rocprim17ROCPRIM_400000_NS6detail17trampoline_kernelINS0_14default_configENS1_22reduce_config_selectorIfEEZNS1_11reduce_implILb1ES3_PfS7_fN6thrust23THRUST_200600_302600_NS4plusIfEEEE10hipError_tPvRmT1_T2_T3_mT4_P12ihipStream_tbEUlT_E0_NS1_11comp_targetILNS1_3genE5ELNS1_11target_archE942ELNS1_3gpuE9ELNS1_3repE0EEENS1_30default_config_static_selectorELNS0_4arch9wavefront6targetE0EEEvSF_.num_named_barrier, 0
	.set _ZN7rocprim17ROCPRIM_400000_NS6detail17trampoline_kernelINS0_14default_configENS1_22reduce_config_selectorIfEEZNS1_11reduce_implILb1ES3_PfS7_fN6thrust23THRUST_200600_302600_NS4plusIfEEEE10hipError_tPvRmT1_T2_T3_mT4_P12ihipStream_tbEUlT_E0_NS1_11comp_targetILNS1_3genE5ELNS1_11target_archE942ELNS1_3gpuE9ELNS1_3repE0EEENS1_30default_config_static_selectorELNS0_4arch9wavefront6targetE0EEEvSF_.private_seg_size, 0
	.set _ZN7rocprim17ROCPRIM_400000_NS6detail17trampoline_kernelINS0_14default_configENS1_22reduce_config_selectorIfEEZNS1_11reduce_implILb1ES3_PfS7_fN6thrust23THRUST_200600_302600_NS4plusIfEEEE10hipError_tPvRmT1_T2_T3_mT4_P12ihipStream_tbEUlT_E0_NS1_11comp_targetILNS1_3genE5ELNS1_11target_archE942ELNS1_3gpuE9ELNS1_3repE0EEENS1_30default_config_static_selectorELNS0_4arch9wavefront6targetE0EEEvSF_.uses_vcc, 0
	.set _ZN7rocprim17ROCPRIM_400000_NS6detail17trampoline_kernelINS0_14default_configENS1_22reduce_config_selectorIfEEZNS1_11reduce_implILb1ES3_PfS7_fN6thrust23THRUST_200600_302600_NS4plusIfEEEE10hipError_tPvRmT1_T2_T3_mT4_P12ihipStream_tbEUlT_E0_NS1_11comp_targetILNS1_3genE5ELNS1_11target_archE942ELNS1_3gpuE9ELNS1_3repE0EEENS1_30default_config_static_selectorELNS0_4arch9wavefront6targetE0EEEvSF_.uses_flat_scratch, 0
	.set _ZN7rocprim17ROCPRIM_400000_NS6detail17trampoline_kernelINS0_14default_configENS1_22reduce_config_selectorIfEEZNS1_11reduce_implILb1ES3_PfS7_fN6thrust23THRUST_200600_302600_NS4plusIfEEEE10hipError_tPvRmT1_T2_T3_mT4_P12ihipStream_tbEUlT_E0_NS1_11comp_targetILNS1_3genE5ELNS1_11target_archE942ELNS1_3gpuE9ELNS1_3repE0EEENS1_30default_config_static_selectorELNS0_4arch9wavefront6targetE0EEEvSF_.has_dyn_sized_stack, 0
	.set _ZN7rocprim17ROCPRIM_400000_NS6detail17trampoline_kernelINS0_14default_configENS1_22reduce_config_selectorIfEEZNS1_11reduce_implILb1ES3_PfS7_fN6thrust23THRUST_200600_302600_NS4plusIfEEEE10hipError_tPvRmT1_T2_T3_mT4_P12ihipStream_tbEUlT_E0_NS1_11comp_targetILNS1_3genE5ELNS1_11target_archE942ELNS1_3gpuE9ELNS1_3repE0EEENS1_30default_config_static_selectorELNS0_4arch9wavefront6targetE0EEEvSF_.has_recursion, 0
	.set _ZN7rocprim17ROCPRIM_400000_NS6detail17trampoline_kernelINS0_14default_configENS1_22reduce_config_selectorIfEEZNS1_11reduce_implILb1ES3_PfS7_fN6thrust23THRUST_200600_302600_NS4plusIfEEEE10hipError_tPvRmT1_T2_T3_mT4_P12ihipStream_tbEUlT_E0_NS1_11comp_targetILNS1_3genE5ELNS1_11target_archE942ELNS1_3gpuE9ELNS1_3repE0EEENS1_30default_config_static_selectorELNS0_4arch9wavefront6targetE0EEEvSF_.has_indirect_call, 0
	.section	.AMDGPU.csdata,"",@progbits
; Kernel info:
; codeLenInByte = 0
; TotalNumSgprs: 0
; NumVgprs: 0
; ScratchSize: 0
; MemoryBound: 0
; FloatMode: 240
; IeeeMode: 1
; LDSByteSize: 0 bytes/workgroup (compile time only)
; SGPRBlocks: 0
; VGPRBlocks: 0
; NumSGPRsForWavesPerEU: 1
; NumVGPRsForWavesPerEU: 1
; NamedBarCnt: 0
; Occupancy: 16
; WaveLimiterHint : 0
; COMPUTE_PGM_RSRC2:SCRATCH_EN: 0
; COMPUTE_PGM_RSRC2:USER_SGPR: 2
; COMPUTE_PGM_RSRC2:TRAP_HANDLER: 0
; COMPUTE_PGM_RSRC2:TGID_X_EN: 1
; COMPUTE_PGM_RSRC2:TGID_Y_EN: 0
; COMPUTE_PGM_RSRC2:TGID_Z_EN: 0
; COMPUTE_PGM_RSRC2:TIDIG_COMP_CNT: 0
	.section	.text._ZN7rocprim17ROCPRIM_400000_NS6detail17trampoline_kernelINS0_14default_configENS1_22reduce_config_selectorIfEEZNS1_11reduce_implILb1ES3_PfS7_fN6thrust23THRUST_200600_302600_NS4plusIfEEEE10hipError_tPvRmT1_T2_T3_mT4_P12ihipStream_tbEUlT_E0_NS1_11comp_targetILNS1_3genE4ELNS1_11target_archE910ELNS1_3gpuE8ELNS1_3repE0EEENS1_30default_config_static_selectorELNS0_4arch9wavefront6targetE0EEEvSF_,"axG",@progbits,_ZN7rocprim17ROCPRIM_400000_NS6detail17trampoline_kernelINS0_14default_configENS1_22reduce_config_selectorIfEEZNS1_11reduce_implILb1ES3_PfS7_fN6thrust23THRUST_200600_302600_NS4plusIfEEEE10hipError_tPvRmT1_T2_T3_mT4_P12ihipStream_tbEUlT_E0_NS1_11comp_targetILNS1_3genE4ELNS1_11target_archE910ELNS1_3gpuE8ELNS1_3repE0EEENS1_30default_config_static_selectorELNS0_4arch9wavefront6targetE0EEEvSF_,comdat
	.protected	_ZN7rocprim17ROCPRIM_400000_NS6detail17trampoline_kernelINS0_14default_configENS1_22reduce_config_selectorIfEEZNS1_11reduce_implILb1ES3_PfS7_fN6thrust23THRUST_200600_302600_NS4plusIfEEEE10hipError_tPvRmT1_T2_T3_mT4_P12ihipStream_tbEUlT_E0_NS1_11comp_targetILNS1_3genE4ELNS1_11target_archE910ELNS1_3gpuE8ELNS1_3repE0EEENS1_30default_config_static_selectorELNS0_4arch9wavefront6targetE0EEEvSF_ ; -- Begin function _ZN7rocprim17ROCPRIM_400000_NS6detail17trampoline_kernelINS0_14default_configENS1_22reduce_config_selectorIfEEZNS1_11reduce_implILb1ES3_PfS7_fN6thrust23THRUST_200600_302600_NS4plusIfEEEE10hipError_tPvRmT1_T2_T3_mT4_P12ihipStream_tbEUlT_E0_NS1_11comp_targetILNS1_3genE4ELNS1_11target_archE910ELNS1_3gpuE8ELNS1_3repE0EEENS1_30default_config_static_selectorELNS0_4arch9wavefront6targetE0EEEvSF_
	.globl	_ZN7rocprim17ROCPRIM_400000_NS6detail17trampoline_kernelINS0_14default_configENS1_22reduce_config_selectorIfEEZNS1_11reduce_implILb1ES3_PfS7_fN6thrust23THRUST_200600_302600_NS4plusIfEEEE10hipError_tPvRmT1_T2_T3_mT4_P12ihipStream_tbEUlT_E0_NS1_11comp_targetILNS1_3genE4ELNS1_11target_archE910ELNS1_3gpuE8ELNS1_3repE0EEENS1_30default_config_static_selectorELNS0_4arch9wavefront6targetE0EEEvSF_
	.p2align	8
	.type	_ZN7rocprim17ROCPRIM_400000_NS6detail17trampoline_kernelINS0_14default_configENS1_22reduce_config_selectorIfEEZNS1_11reduce_implILb1ES3_PfS7_fN6thrust23THRUST_200600_302600_NS4plusIfEEEE10hipError_tPvRmT1_T2_T3_mT4_P12ihipStream_tbEUlT_E0_NS1_11comp_targetILNS1_3genE4ELNS1_11target_archE910ELNS1_3gpuE8ELNS1_3repE0EEENS1_30default_config_static_selectorELNS0_4arch9wavefront6targetE0EEEvSF_,@function
_ZN7rocprim17ROCPRIM_400000_NS6detail17trampoline_kernelINS0_14default_configENS1_22reduce_config_selectorIfEEZNS1_11reduce_implILb1ES3_PfS7_fN6thrust23THRUST_200600_302600_NS4plusIfEEEE10hipError_tPvRmT1_T2_T3_mT4_P12ihipStream_tbEUlT_E0_NS1_11comp_targetILNS1_3genE4ELNS1_11target_archE910ELNS1_3gpuE8ELNS1_3repE0EEENS1_30default_config_static_selectorELNS0_4arch9wavefront6targetE0EEEvSF_: ; @_ZN7rocprim17ROCPRIM_400000_NS6detail17trampoline_kernelINS0_14default_configENS1_22reduce_config_selectorIfEEZNS1_11reduce_implILb1ES3_PfS7_fN6thrust23THRUST_200600_302600_NS4plusIfEEEE10hipError_tPvRmT1_T2_T3_mT4_P12ihipStream_tbEUlT_E0_NS1_11comp_targetILNS1_3genE4ELNS1_11target_archE910ELNS1_3gpuE8ELNS1_3repE0EEENS1_30default_config_static_selectorELNS0_4arch9wavefront6targetE0EEEvSF_
; %bb.0:
	.section	.rodata,"a",@progbits
	.p2align	6, 0x0
	.amdhsa_kernel _ZN7rocprim17ROCPRIM_400000_NS6detail17trampoline_kernelINS0_14default_configENS1_22reduce_config_selectorIfEEZNS1_11reduce_implILb1ES3_PfS7_fN6thrust23THRUST_200600_302600_NS4plusIfEEEE10hipError_tPvRmT1_T2_T3_mT4_P12ihipStream_tbEUlT_E0_NS1_11comp_targetILNS1_3genE4ELNS1_11target_archE910ELNS1_3gpuE8ELNS1_3repE0EEENS1_30default_config_static_selectorELNS0_4arch9wavefront6targetE0EEEvSF_
		.amdhsa_group_segment_fixed_size 0
		.amdhsa_private_segment_fixed_size 0
		.amdhsa_kernarg_size 56
		.amdhsa_user_sgpr_count 2
		.amdhsa_user_sgpr_dispatch_ptr 0
		.amdhsa_user_sgpr_queue_ptr 0
		.amdhsa_user_sgpr_kernarg_segment_ptr 1
		.amdhsa_user_sgpr_dispatch_id 0
		.amdhsa_user_sgpr_kernarg_preload_length 0
		.amdhsa_user_sgpr_kernarg_preload_offset 0
		.amdhsa_user_sgpr_private_segment_size 0
		.amdhsa_wavefront_size32 1
		.amdhsa_uses_dynamic_stack 0
		.amdhsa_enable_private_segment 0
		.amdhsa_system_sgpr_workgroup_id_x 1
		.amdhsa_system_sgpr_workgroup_id_y 0
		.amdhsa_system_sgpr_workgroup_id_z 0
		.amdhsa_system_sgpr_workgroup_info 0
		.amdhsa_system_vgpr_workitem_id 0
		.amdhsa_next_free_vgpr 1
		.amdhsa_next_free_sgpr 1
		.amdhsa_named_barrier_count 0
		.amdhsa_reserve_vcc 0
		.amdhsa_float_round_mode_32 0
		.amdhsa_float_round_mode_16_64 0
		.amdhsa_float_denorm_mode_32 3
		.amdhsa_float_denorm_mode_16_64 3
		.amdhsa_fp16_overflow 0
		.amdhsa_memory_ordered 1
		.amdhsa_forward_progress 1
		.amdhsa_inst_pref_size 0
		.amdhsa_round_robin_scheduling 0
		.amdhsa_exception_fp_ieee_invalid_op 0
		.amdhsa_exception_fp_denorm_src 0
		.amdhsa_exception_fp_ieee_div_zero 0
		.amdhsa_exception_fp_ieee_overflow 0
		.amdhsa_exception_fp_ieee_underflow 0
		.amdhsa_exception_fp_ieee_inexact 0
		.amdhsa_exception_int_div_zero 0
	.end_amdhsa_kernel
	.section	.text._ZN7rocprim17ROCPRIM_400000_NS6detail17trampoline_kernelINS0_14default_configENS1_22reduce_config_selectorIfEEZNS1_11reduce_implILb1ES3_PfS7_fN6thrust23THRUST_200600_302600_NS4plusIfEEEE10hipError_tPvRmT1_T2_T3_mT4_P12ihipStream_tbEUlT_E0_NS1_11comp_targetILNS1_3genE4ELNS1_11target_archE910ELNS1_3gpuE8ELNS1_3repE0EEENS1_30default_config_static_selectorELNS0_4arch9wavefront6targetE0EEEvSF_,"axG",@progbits,_ZN7rocprim17ROCPRIM_400000_NS6detail17trampoline_kernelINS0_14default_configENS1_22reduce_config_selectorIfEEZNS1_11reduce_implILb1ES3_PfS7_fN6thrust23THRUST_200600_302600_NS4plusIfEEEE10hipError_tPvRmT1_T2_T3_mT4_P12ihipStream_tbEUlT_E0_NS1_11comp_targetILNS1_3genE4ELNS1_11target_archE910ELNS1_3gpuE8ELNS1_3repE0EEENS1_30default_config_static_selectorELNS0_4arch9wavefront6targetE0EEEvSF_,comdat
.Lfunc_end2:
	.size	_ZN7rocprim17ROCPRIM_400000_NS6detail17trampoline_kernelINS0_14default_configENS1_22reduce_config_selectorIfEEZNS1_11reduce_implILb1ES3_PfS7_fN6thrust23THRUST_200600_302600_NS4plusIfEEEE10hipError_tPvRmT1_T2_T3_mT4_P12ihipStream_tbEUlT_E0_NS1_11comp_targetILNS1_3genE4ELNS1_11target_archE910ELNS1_3gpuE8ELNS1_3repE0EEENS1_30default_config_static_selectorELNS0_4arch9wavefront6targetE0EEEvSF_, .Lfunc_end2-_ZN7rocprim17ROCPRIM_400000_NS6detail17trampoline_kernelINS0_14default_configENS1_22reduce_config_selectorIfEEZNS1_11reduce_implILb1ES3_PfS7_fN6thrust23THRUST_200600_302600_NS4plusIfEEEE10hipError_tPvRmT1_T2_T3_mT4_P12ihipStream_tbEUlT_E0_NS1_11comp_targetILNS1_3genE4ELNS1_11target_archE910ELNS1_3gpuE8ELNS1_3repE0EEENS1_30default_config_static_selectorELNS0_4arch9wavefront6targetE0EEEvSF_
                                        ; -- End function
	.set _ZN7rocprim17ROCPRIM_400000_NS6detail17trampoline_kernelINS0_14default_configENS1_22reduce_config_selectorIfEEZNS1_11reduce_implILb1ES3_PfS7_fN6thrust23THRUST_200600_302600_NS4plusIfEEEE10hipError_tPvRmT1_T2_T3_mT4_P12ihipStream_tbEUlT_E0_NS1_11comp_targetILNS1_3genE4ELNS1_11target_archE910ELNS1_3gpuE8ELNS1_3repE0EEENS1_30default_config_static_selectorELNS0_4arch9wavefront6targetE0EEEvSF_.num_vgpr, 0
	.set _ZN7rocprim17ROCPRIM_400000_NS6detail17trampoline_kernelINS0_14default_configENS1_22reduce_config_selectorIfEEZNS1_11reduce_implILb1ES3_PfS7_fN6thrust23THRUST_200600_302600_NS4plusIfEEEE10hipError_tPvRmT1_T2_T3_mT4_P12ihipStream_tbEUlT_E0_NS1_11comp_targetILNS1_3genE4ELNS1_11target_archE910ELNS1_3gpuE8ELNS1_3repE0EEENS1_30default_config_static_selectorELNS0_4arch9wavefront6targetE0EEEvSF_.num_agpr, 0
	.set _ZN7rocprim17ROCPRIM_400000_NS6detail17trampoline_kernelINS0_14default_configENS1_22reduce_config_selectorIfEEZNS1_11reduce_implILb1ES3_PfS7_fN6thrust23THRUST_200600_302600_NS4plusIfEEEE10hipError_tPvRmT1_T2_T3_mT4_P12ihipStream_tbEUlT_E0_NS1_11comp_targetILNS1_3genE4ELNS1_11target_archE910ELNS1_3gpuE8ELNS1_3repE0EEENS1_30default_config_static_selectorELNS0_4arch9wavefront6targetE0EEEvSF_.numbered_sgpr, 0
	.set _ZN7rocprim17ROCPRIM_400000_NS6detail17trampoline_kernelINS0_14default_configENS1_22reduce_config_selectorIfEEZNS1_11reduce_implILb1ES3_PfS7_fN6thrust23THRUST_200600_302600_NS4plusIfEEEE10hipError_tPvRmT1_T2_T3_mT4_P12ihipStream_tbEUlT_E0_NS1_11comp_targetILNS1_3genE4ELNS1_11target_archE910ELNS1_3gpuE8ELNS1_3repE0EEENS1_30default_config_static_selectorELNS0_4arch9wavefront6targetE0EEEvSF_.num_named_barrier, 0
	.set _ZN7rocprim17ROCPRIM_400000_NS6detail17trampoline_kernelINS0_14default_configENS1_22reduce_config_selectorIfEEZNS1_11reduce_implILb1ES3_PfS7_fN6thrust23THRUST_200600_302600_NS4plusIfEEEE10hipError_tPvRmT1_T2_T3_mT4_P12ihipStream_tbEUlT_E0_NS1_11comp_targetILNS1_3genE4ELNS1_11target_archE910ELNS1_3gpuE8ELNS1_3repE0EEENS1_30default_config_static_selectorELNS0_4arch9wavefront6targetE0EEEvSF_.private_seg_size, 0
	.set _ZN7rocprim17ROCPRIM_400000_NS6detail17trampoline_kernelINS0_14default_configENS1_22reduce_config_selectorIfEEZNS1_11reduce_implILb1ES3_PfS7_fN6thrust23THRUST_200600_302600_NS4plusIfEEEE10hipError_tPvRmT1_T2_T3_mT4_P12ihipStream_tbEUlT_E0_NS1_11comp_targetILNS1_3genE4ELNS1_11target_archE910ELNS1_3gpuE8ELNS1_3repE0EEENS1_30default_config_static_selectorELNS0_4arch9wavefront6targetE0EEEvSF_.uses_vcc, 0
	.set _ZN7rocprim17ROCPRIM_400000_NS6detail17trampoline_kernelINS0_14default_configENS1_22reduce_config_selectorIfEEZNS1_11reduce_implILb1ES3_PfS7_fN6thrust23THRUST_200600_302600_NS4plusIfEEEE10hipError_tPvRmT1_T2_T3_mT4_P12ihipStream_tbEUlT_E0_NS1_11comp_targetILNS1_3genE4ELNS1_11target_archE910ELNS1_3gpuE8ELNS1_3repE0EEENS1_30default_config_static_selectorELNS0_4arch9wavefront6targetE0EEEvSF_.uses_flat_scratch, 0
	.set _ZN7rocprim17ROCPRIM_400000_NS6detail17trampoline_kernelINS0_14default_configENS1_22reduce_config_selectorIfEEZNS1_11reduce_implILb1ES3_PfS7_fN6thrust23THRUST_200600_302600_NS4plusIfEEEE10hipError_tPvRmT1_T2_T3_mT4_P12ihipStream_tbEUlT_E0_NS1_11comp_targetILNS1_3genE4ELNS1_11target_archE910ELNS1_3gpuE8ELNS1_3repE0EEENS1_30default_config_static_selectorELNS0_4arch9wavefront6targetE0EEEvSF_.has_dyn_sized_stack, 0
	.set _ZN7rocprim17ROCPRIM_400000_NS6detail17trampoline_kernelINS0_14default_configENS1_22reduce_config_selectorIfEEZNS1_11reduce_implILb1ES3_PfS7_fN6thrust23THRUST_200600_302600_NS4plusIfEEEE10hipError_tPvRmT1_T2_T3_mT4_P12ihipStream_tbEUlT_E0_NS1_11comp_targetILNS1_3genE4ELNS1_11target_archE910ELNS1_3gpuE8ELNS1_3repE0EEENS1_30default_config_static_selectorELNS0_4arch9wavefront6targetE0EEEvSF_.has_recursion, 0
	.set _ZN7rocprim17ROCPRIM_400000_NS6detail17trampoline_kernelINS0_14default_configENS1_22reduce_config_selectorIfEEZNS1_11reduce_implILb1ES3_PfS7_fN6thrust23THRUST_200600_302600_NS4plusIfEEEE10hipError_tPvRmT1_T2_T3_mT4_P12ihipStream_tbEUlT_E0_NS1_11comp_targetILNS1_3genE4ELNS1_11target_archE910ELNS1_3gpuE8ELNS1_3repE0EEENS1_30default_config_static_selectorELNS0_4arch9wavefront6targetE0EEEvSF_.has_indirect_call, 0
	.section	.AMDGPU.csdata,"",@progbits
; Kernel info:
; codeLenInByte = 0
; TotalNumSgprs: 0
; NumVgprs: 0
; ScratchSize: 0
; MemoryBound: 0
; FloatMode: 240
; IeeeMode: 1
; LDSByteSize: 0 bytes/workgroup (compile time only)
; SGPRBlocks: 0
; VGPRBlocks: 0
; NumSGPRsForWavesPerEU: 1
; NumVGPRsForWavesPerEU: 1
; NamedBarCnt: 0
; Occupancy: 16
; WaveLimiterHint : 0
; COMPUTE_PGM_RSRC2:SCRATCH_EN: 0
; COMPUTE_PGM_RSRC2:USER_SGPR: 2
; COMPUTE_PGM_RSRC2:TRAP_HANDLER: 0
; COMPUTE_PGM_RSRC2:TGID_X_EN: 1
; COMPUTE_PGM_RSRC2:TGID_Y_EN: 0
; COMPUTE_PGM_RSRC2:TGID_Z_EN: 0
; COMPUTE_PGM_RSRC2:TIDIG_COMP_CNT: 0
	.section	.text._ZN7rocprim17ROCPRIM_400000_NS6detail17trampoline_kernelINS0_14default_configENS1_22reduce_config_selectorIfEEZNS1_11reduce_implILb1ES3_PfS7_fN6thrust23THRUST_200600_302600_NS4plusIfEEEE10hipError_tPvRmT1_T2_T3_mT4_P12ihipStream_tbEUlT_E0_NS1_11comp_targetILNS1_3genE3ELNS1_11target_archE908ELNS1_3gpuE7ELNS1_3repE0EEENS1_30default_config_static_selectorELNS0_4arch9wavefront6targetE0EEEvSF_,"axG",@progbits,_ZN7rocprim17ROCPRIM_400000_NS6detail17trampoline_kernelINS0_14default_configENS1_22reduce_config_selectorIfEEZNS1_11reduce_implILb1ES3_PfS7_fN6thrust23THRUST_200600_302600_NS4plusIfEEEE10hipError_tPvRmT1_T2_T3_mT4_P12ihipStream_tbEUlT_E0_NS1_11comp_targetILNS1_3genE3ELNS1_11target_archE908ELNS1_3gpuE7ELNS1_3repE0EEENS1_30default_config_static_selectorELNS0_4arch9wavefront6targetE0EEEvSF_,comdat
	.protected	_ZN7rocprim17ROCPRIM_400000_NS6detail17trampoline_kernelINS0_14default_configENS1_22reduce_config_selectorIfEEZNS1_11reduce_implILb1ES3_PfS7_fN6thrust23THRUST_200600_302600_NS4plusIfEEEE10hipError_tPvRmT1_T2_T3_mT4_P12ihipStream_tbEUlT_E0_NS1_11comp_targetILNS1_3genE3ELNS1_11target_archE908ELNS1_3gpuE7ELNS1_3repE0EEENS1_30default_config_static_selectorELNS0_4arch9wavefront6targetE0EEEvSF_ ; -- Begin function _ZN7rocprim17ROCPRIM_400000_NS6detail17trampoline_kernelINS0_14default_configENS1_22reduce_config_selectorIfEEZNS1_11reduce_implILb1ES3_PfS7_fN6thrust23THRUST_200600_302600_NS4plusIfEEEE10hipError_tPvRmT1_T2_T3_mT4_P12ihipStream_tbEUlT_E0_NS1_11comp_targetILNS1_3genE3ELNS1_11target_archE908ELNS1_3gpuE7ELNS1_3repE0EEENS1_30default_config_static_selectorELNS0_4arch9wavefront6targetE0EEEvSF_
	.globl	_ZN7rocprim17ROCPRIM_400000_NS6detail17trampoline_kernelINS0_14default_configENS1_22reduce_config_selectorIfEEZNS1_11reduce_implILb1ES3_PfS7_fN6thrust23THRUST_200600_302600_NS4plusIfEEEE10hipError_tPvRmT1_T2_T3_mT4_P12ihipStream_tbEUlT_E0_NS1_11comp_targetILNS1_3genE3ELNS1_11target_archE908ELNS1_3gpuE7ELNS1_3repE0EEENS1_30default_config_static_selectorELNS0_4arch9wavefront6targetE0EEEvSF_
	.p2align	8
	.type	_ZN7rocprim17ROCPRIM_400000_NS6detail17trampoline_kernelINS0_14default_configENS1_22reduce_config_selectorIfEEZNS1_11reduce_implILb1ES3_PfS7_fN6thrust23THRUST_200600_302600_NS4plusIfEEEE10hipError_tPvRmT1_T2_T3_mT4_P12ihipStream_tbEUlT_E0_NS1_11comp_targetILNS1_3genE3ELNS1_11target_archE908ELNS1_3gpuE7ELNS1_3repE0EEENS1_30default_config_static_selectorELNS0_4arch9wavefront6targetE0EEEvSF_,@function
_ZN7rocprim17ROCPRIM_400000_NS6detail17trampoline_kernelINS0_14default_configENS1_22reduce_config_selectorIfEEZNS1_11reduce_implILb1ES3_PfS7_fN6thrust23THRUST_200600_302600_NS4plusIfEEEE10hipError_tPvRmT1_T2_T3_mT4_P12ihipStream_tbEUlT_E0_NS1_11comp_targetILNS1_3genE3ELNS1_11target_archE908ELNS1_3gpuE7ELNS1_3repE0EEENS1_30default_config_static_selectorELNS0_4arch9wavefront6targetE0EEEvSF_: ; @_ZN7rocprim17ROCPRIM_400000_NS6detail17trampoline_kernelINS0_14default_configENS1_22reduce_config_selectorIfEEZNS1_11reduce_implILb1ES3_PfS7_fN6thrust23THRUST_200600_302600_NS4plusIfEEEE10hipError_tPvRmT1_T2_T3_mT4_P12ihipStream_tbEUlT_E0_NS1_11comp_targetILNS1_3genE3ELNS1_11target_archE908ELNS1_3gpuE7ELNS1_3repE0EEENS1_30default_config_static_selectorELNS0_4arch9wavefront6targetE0EEEvSF_
; %bb.0:
	.section	.rodata,"a",@progbits
	.p2align	6, 0x0
	.amdhsa_kernel _ZN7rocprim17ROCPRIM_400000_NS6detail17trampoline_kernelINS0_14default_configENS1_22reduce_config_selectorIfEEZNS1_11reduce_implILb1ES3_PfS7_fN6thrust23THRUST_200600_302600_NS4plusIfEEEE10hipError_tPvRmT1_T2_T3_mT4_P12ihipStream_tbEUlT_E0_NS1_11comp_targetILNS1_3genE3ELNS1_11target_archE908ELNS1_3gpuE7ELNS1_3repE0EEENS1_30default_config_static_selectorELNS0_4arch9wavefront6targetE0EEEvSF_
		.amdhsa_group_segment_fixed_size 0
		.amdhsa_private_segment_fixed_size 0
		.amdhsa_kernarg_size 56
		.amdhsa_user_sgpr_count 2
		.amdhsa_user_sgpr_dispatch_ptr 0
		.amdhsa_user_sgpr_queue_ptr 0
		.amdhsa_user_sgpr_kernarg_segment_ptr 1
		.amdhsa_user_sgpr_dispatch_id 0
		.amdhsa_user_sgpr_kernarg_preload_length 0
		.amdhsa_user_sgpr_kernarg_preload_offset 0
		.amdhsa_user_sgpr_private_segment_size 0
		.amdhsa_wavefront_size32 1
		.amdhsa_uses_dynamic_stack 0
		.amdhsa_enable_private_segment 0
		.amdhsa_system_sgpr_workgroup_id_x 1
		.amdhsa_system_sgpr_workgroup_id_y 0
		.amdhsa_system_sgpr_workgroup_id_z 0
		.amdhsa_system_sgpr_workgroup_info 0
		.amdhsa_system_vgpr_workitem_id 0
		.amdhsa_next_free_vgpr 1
		.amdhsa_next_free_sgpr 1
		.amdhsa_named_barrier_count 0
		.amdhsa_reserve_vcc 0
		.amdhsa_float_round_mode_32 0
		.amdhsa_float_round_mode_16_64 0
		.amdhsa_float_denorm_mode_32 3
		.amdhsa_float_denorm_mode_16_64 3
		.amdhsa_fp16_overflow 0
		.amdhsa_memory_ordered 1
		.amdhsa_forward_progress 1
		.amdhsa_inst_pref_size 0
		.amdhsa_round_robin_scheduling 0
		.amdhsa_exception_fp_ieee_invalid_op 0
		.amdhsa_exception_fp_denorm_src 0
		.amdhsa_exception_fp_ieee_div_zero 0
		.amdhsa_exception_fp_ieee_overflow 0
		.amdhsa_exception_fp_ieee_underflow 0
		.amdhsa_exception_fp_ieee_inexact 0
		.amdhsa_exception_int_div_zero 0
	.end_amdhsa_kernel
	.section	.text._ZN7rocprim17ROCPRIM_400000_NS6detail17trampoline_kernelINS0_14default_configENS1_22reduce_config_selectorIfEEZNS1_11reduce_implILb1ES3_PfS7_fN6thrust23THRUST_200600_302600_NS4plusIfEEEE10hipError_tPvRmT1_T2_T3_mT4_P12ihipStream_tbEUlT_E0_NS1_11comp_targetILNS1_3genE3ELNS1_11target_archE908ELNS1_3gpuE7ELNS1_3repE0EEENS1_30default_config_static_selectorELNS0_4arch9wavefront6targetE0EEEvSF_,"axG",@progbits,_ZN7rocprim17ROCPRIM_400000_NS6detail17trampoline_kernelINS0_14default_configENS1_22reduce_config_selectorIfEEZNS1_11reduce_implILb1ES3_PfS7_fN6thrust23THRUST_200600_302600_NS4plusIfEEEE10hipError_tPvRmT1_T2_T3_mT4_P12ihipStream_tbEUlT_E0_NS1_11comp_targetILNS1_3genE3ELNS1_11target_archE908ELNS1_3gpuE7ELNS1_3repE0EEENS1_30default_config_static_selectorELNS0_4arch9wavefront6targetE0EEEvSF_,comdat
.Lfunc_end3:
	.size	_ZN7rocprim17ROCPRIM_400000_NS6detail17trampoline_kernelINS0_14default_configENS1_22reduce_config_selectorIfEEZNS1_11reduce_implILb1ES3_PfS7_fN6thrust23THRUST_200600_302600_NS4plusIfEEEE10hipError_tPvRmT1_T2_T3_mT4_P12ihipStream_tbEUlT_E0_NS1_11comp_targetILNS1_3genE3ELNS1_11target_archE908ELNS1_3gpuE7ELNS1_3repE0EEENS1_30default_config_static_selectorELNS0_4arch9wavefront6targetE0EEEvSF_, .Lfunc_end3-_ZN7rocprim17ROCPRIM_400000_NS6detail17trampoline_kernelINS0_14default_configENS1_22reduce_config_selectorIfEEZNS1_11reduce_implILb1ES3_PfS7_fN6thrust23THRUST_200600_302600_NS4plusIfEEEE10hipError_tPvRmT1_T2_T3_mT4_P12ihipStream_tbEUlT_E0_NS1_11comp_targetILNS1_3genE3ELNS1_11target_archE908ELNS1_3gpuE7ELNS1_3repE0EEENS1_30default_config_static_selectorELNS0_4arch9wavefront6targetE0EEEvSF_
                                        ; -- End function
	.set _ZN7rocprim17ROCPRIM_400000_NS6detail17trampoline_kernelINS0_14default_configENS1_22reduce_config_selectorIfEEZNS1_11reduce_implILb1ES3_PfS7_fN6thrust23THRUST_200600_302600_NS4plusIfEEEE10hipError_tPvRmT1_T2_T3_mT4_P12ihipStream_tbEUlT_E0_NS1_11comp_targetILNS1_3genE3ELNS1_11target_archE908ELNS1_3gpuE7ELNS1_3repE0EEENS1_30default_config_static_selectorELNS0_4arch9wavefront6targetE0EEEvSF_.num_vgpr, 0
	.set _ZN7rocprim17ROCPRIM_400000_NS6detail17trampoline_kernelINS0_14default_configENS1_22reduce_config_selectorIfEEZNS1_11reduce_implILb1ES3_PfS7_fN6thrust23THRUST_200600_302600_NS4plusIfEEEE10hipError_tPvRmT1_T2_T3_mT4_P12ihipStream_tbEUlT_E0_NS1_11comp_targetILNS1_3genE3ELNS1_11target_archE908ELNS1_3gpuE7ELNS1_3repE0EEENS1_30default_config_static_selectorELNS0_4arch9wavefront6targetE0EEEvSF_.num_agpr, 0
	.set _ZN7rocprim17ROCPRIM_400000_NS6detail17trampoline_kernelINS0_14default_configENS1_22reduce_config_selectorIfEEZNS1_11reduce_implILb1ES3_PfS7_fN6thrust23THRUST_200600_302600_NS4plusIfEEEE10hipError_tPvRmT1_T2_T3_mT4_P12ihipStream_tbEUlT_E0_NS1_11comp_targetILNS1_3genE3ELNS1_11target_archE908ELNS1_3gpuE7ELNS1_3repE0EEENS1_30default_config_static_selectorELNS0_4arch9wavefront6targetE0EEEvSF_.numbered_sgpr, 0
	.set _ZN7rocprim17ROCPRIM_400000_NS6detail17trampoline_kernelINS0_14default_configENS1_22reduce_config_selectorIfEEZNS1_11reduce_implILb1ES3_PfS7_fN6thrust23THRUST_200600_302600_NS4plusIfEEEE10hipError_tPvRmT1_T2_T3_mT4_P12ihipStream_tbEUlT_E0_NS1_11comp_targetILNS1_3genE3ELNS1_11target_archE908ELNS1_3gpuE7ELNS1_3repE0EEENS1_30default_config_static_selectorELNS0_4arch9wavefront6targetE0EEEvSF_.num_named_barrier, 0
	.set _ZN7rocprim17ROCPRIM_400000_NS6detail17trampoline_kernelINS0_14default_configENS1_22reduce_config_selectorIfEEZNS1_11reduce_implILb1ES3_PfS7_fN6thrust23THRUST_200600_302600_NS4plusIfEEEE10hipError_tPvRmT1_T2_T3_mT4_P12ihipStream_tbEUlT_E0_NS1_11comp_targetILNS1_3genE3ELNS1_11target_archE908ELNS1_3gpuE7ELNS1_3repE0EEENS1_30default_config_static_selectorELNS0_4arch9wavefront6targetE0EEEvSF_.private_seg_size, 0
	.set _ZN7rocprim17ROCPRIM_400000_NS6detail17trampoline_kernelINS0_14default_configENS1_22reduce_config_selectorIfEEZNS1_11reduce_implILb1ES3_PfS7_fN6thrust23THRUST_200600_302600_NS4plusIfEEEE10hipError_tPvRmT1_T2_T3_mT4_P12ihipStream_tbEUlT_E0_NS1_11comp_targetILNS1_3genE3ELNS1_11target_archE908ELNS1_3gpuE7ELNS1_3repE0EEENS1_30default_config_static_selectorELNS0_4arch9wavefront6targetE0EEEvSF_.uses_vcc, 0
	.set _ZN7rocprim17ROCPRIM_400000_NS6detail17trampoline_kernelINS0_14default_configENS1_22reduce_config_selectorIfEEZNS1_11reduce_implILb1ES3_PfS7_fN6thrust23THRUST_200600_302600_NS4plusIfEEEE10hipError_tPvRmT1_T2_T3_mT4_P12ihipStream_tbEUlT_E0_NS1_11comp_targetILNS1_3genE3ELNS1_11target_archE908ELNS1_3gpuE7ELNS1_3repE0EEENS1_30default_config_static_selectorELNS0_4arch9wavefront6targetE0EEEvSF_.uses_flat_scratch, 0
	.set _ZN7rocprim17ROCPRIM_400000_NS6detail17trampoline_kernelINS0_14default_configENS1_22reduce_config_selectorIfEEZNS1_11reduce_implILb1ES3_PfS7_fN6thrust23THRUST_200600_302600_NS4plusIfEEEE10hipError_tPvRmT1_T2_T3_mT4_P12ihipStream_tbEUlT_E0_NS1_11comp_targetILNS1_3genE3ELNS1_11target_archE908ELNS1_3gpuE7ELNS1_3repE0EEENS1_30default_config_static_selectorELNS0_4arch9wavefront6targetE0EEEvSF_.has_dyn_sized_stack, 0
	.set _ZN7rocprim17ROCPRIM_400000_NS6detail17trampoline_kernelINS0_14default_configENS1_22reduce_config_selectorIfEEZNS1_11reduce_implILb1ES3_PfS7_fN6thrust23THRUST_200600_302600_NS4plusIfEEEE10hipError_tPvRmT1_T2_T3_mT4_P12ihipStream_tbEUlT_E0_NS1_11comp_targetILNS1_3genE3ELNS1_11target_archE908ELNS1_3gpuE7ELNS1_3repE0EEENS1_30default_config_static_selectorELNS0_4arch9wavefront6targetE0EEEvSF_.has_recursion, 0
	.set _ZN7rocprim17ROCPRIM_400000_NS6detail17trampoline_kernelINS0_14default_configENS1_22reduce_config_selectorIfEEZNS1_11reduce_implILb1ES3_PfS7_fN6thrust23THRUST_200600_302600_NS4plusIfEEEE10hipError_tPvRmT1_T2_T3_mT4_P12ihipStream_tbEUlT_E0_NS1_11comp_targetILNS1_3genE3ELNS1_11target_archE908ELNS1_3gpuE7ELNS1_3repE0EEENS1_30default_config_static_selectorELNS0_4arch9wavefront6targetE0EEEvSF_.has_indirect_call, 0
	.section	.AMDGPU.csdata,"",@progbits
; Kernel info:
; codeLenInByte = 0
; TotalNumSgprs: 0
; NumVgprs: 0
; ScratchSize: 0
; MemoryBound: 0
; FloatMode: 240
; IeeeMode: 1
; LDSByteSize: 0 bytes/workgroup (compile time only)
; SGPRBlocks: 0
; VGPRBlocks: 0
; NumSGPRsForWavesPerEU: 1
; NumVGPRsForWavesPerEU: 1
; NamedBarCnt: 0
; Occupancy: 16
; WaveLimiterHint : 0
; COMPUTE_PGM_RSRC2:SCRATCH_EN: 0
; COMPUTE_PGM_RSRC2:USER_SGPR: 2
; COMPUTE_PGM_RSRC2:TRAP_HANDLER: 0
; COMPUTE_PGM_RSRC2:TGID_X_EN: 1
; COMPUTE_PGM_RSRC2:TGID_Y_EN: 0
; COMPUTE_PGM_RSRC2:TGID_Z_EN: 0
; COMPUTE_PGM_RSRC2:TIDIG_COMP_CNT: 0
	.section	.text._ZN7rocprim17ROCPRIM_400000_NS6detail17trampoline_kernelINS0_14default_configENS1_22reduce_config_selectorIfEEZNS1_11reduce_implILb1ES3_PfS7_fN6thrust23THRUST_200600_302600_NS4plusIfEEEE10hipError_tPvRmT1_T2_T3_mT4_P12ihipStream_tbEUlT_E0_NS1_11comp_targetILNS1_3genE2ELNS1_11target_archE906ELNS1_3gpuE6ELNS1_3repE0EEENS1_30default_config_static_selectorELNS0_4arch9wavefront6targetE0EEEvSF_,"axG",@progbits,_ZN7rocprim17ROCPRIM_400000_NS6detail17trampoline_kernelINS0_14default_configENS1_22reduce_config_selectorIfEEZNS1_11reduce_implILb1ES3_PfS7_fN6thrust23THRUST_200600_302600_NS4plusIfEEEE10hipError_tPvRmT1_T2_T3_mT4_P12ihipStream_tbEUlT_E0_NS1_11comp_targetILNS1_3genE2ELNS1_11target_archE906ELNS1_3gpuE6ELNS1_3repE0EEENS1_30default_config_static_selectorELNS0_4arch9wavefront6targetE0EEEvSF_,comdat
	.protected	_ZN7rocprim17ROCPRIM_400000_NS6detail17trampoline_kernelINS0_14default_configENS1_22reduce_config_selectorIfEEZNS1_11reduce_implILb1ES3_PfS7_fN6thrust23THRUST_200600_302600_NS4plusIfEEEE10hipError_tPvRmT1_T2_T3_mT4_P12ihipStream_tbEUlT_E0_NS1_11comp_targetILNS1_3genE2ELNS1_11target_archE906ELNS1_3gpuE6ELNS1_3repE0EEENS1_30default_config_static_selectorELNS0_4arch9wavefront6targetE0EEEvSF_ ; -- Begin function _ZN7rocprim17ROCPRIM_400000_NS6detail17trampoline_kernelINS0_14default_configENS1_22reduce_config_selectorIfEEZNS1_11reduce_implILb1ES3_PfS7_fN6thrust23THRUST_200600_302600_NS4plusIfEEEE10hipError_tPvRmT1_T2_T3_mT4_P12ihipStream_tbEUlT_E0_NS1_11comp_targetILNS1_3genE2ELNS1_11target_archE906ELNS1_3gpuE6ELNS1_3repE0EEENS1_30default_config_static_selectorELNS0_4arch9wavefront6targetE0EEEvSF_
	.globl	_ZN7rocprim17ROCPRIM_400000_NS6detail17trampoline_kernelINS0_14default_configENS1_22reduce_config_selectorIfEEZNS1_11reduce_implILb1ES3_PfS7_fN6thrust23THRUST_200600_302600_NS4plusIfEEEE10hipError_tPvRmT1_T2_T3_mT4_P12ihipStream_tbEUlT_E0_NS1_11comp_targetILNS1_3genE2ELNS1_11target_archE906ELNS1_3gpuE6ELNS1_3repE0EEENS1_30default_config_static_selectorELNS0_4arch9wavefront6targetE0EEEvSF_
	.p2align	8
	.type	_ZN7rocprim17ROCPRIM_400000_NS6detail17trampoline_kernelINS0_14default_configENS1_22reduce_config_selectorIfEEZNS1_11reduce_implILb1ES3_PfS7_fN6thrust23THRUST_200600_302600_NS4plusIfEEEE10hipError_tPvRmT1_T2_T3_mT4_P12ihipStream_tbEUlT_E0_NS1_11comp_targetILNS1_3genE2ELNS1_11target_archE906ELNS1_3gpuE6ELNS1_3repE0EEENS1_30default_config_static_selectorELNS0_4arch9wavefront6targetE0EEEvSF_,@function
_ZN7rocprim17ROCPRIM_400000_NS6detail17trampoline_kernelINS0_14default_configENS1_22reduce_config_selectorIfEEZNS1_11reduce_implILb1ES3_PfS7_fN6thrust23THRUST_200600_302600_NS4plusIfEEEE10hipError_tPvRmT1_T2_T3_mT4_P12ihipStream_tbEUlT_E0_NS1_11comp_targetILNS1_3genE2ELNS1_11target_archE906ELNS1_3gpuE6ELNS1_3repE0EEENS1_30default_config_static_selectorELNS0_4arch9wavefront6targetE0EEEvSF_: ; @_ZN7rocprim17ROCPRIM_400000_NS6detail17trampoline_kernelINS0_14default_configENS1_22reduce_config_selectorIfEEZNS1_11reduce_implILb1ES3_PfS7_fN6thrust23THRUST_200600_302600_NS4plusIfEEEE10hipError_tPvRmT1_T2_T3_mT4_P12ihipStream_tbEUlT_E0_NS1_11comp_targetILNS1_3genE2ELNS1_11target_archE906ELNS1_3gpuE6ELNS1_3repE0EEENS1_30default_config_static_selectorELNS0_4arch9wavefront6targetE0EEEvSF_
; %bb.0:
	.section	.rodata,"a",@progbits
	.p2align	6, 0x0
	.amdhsa_kernel _ZN7rocprim17ROCPRIM_400000_NS6detail17trampoline_kernelINS0_14default_configENS1_22reduce_config_selectorIfEEZNS1_11reduce_implILb1ES3_PfS7_fN6thrust23THRUST_200600_302600_NS4plusIfEEEE10hipError_tPvRmT1_T2_T3_mT4_P12ihipStream_tbEUlT_E0_NS1_11comp_targetILNS1_3genE2ELNS1_11target_archE906ELNS1_3gpuE6ELNS1_3repE0EEENS1_30default_config_static_selectorELNS0_4arch9wavefront6targetE0EEEvSF_
		.amdhsa_group_segment_fixed_size 0
		.amdhsa_private_segment_fixed_size 0
		.amdhsa_kernarg_size 56
		.amdhsa_user_sgpr_count 2
		.amdhsa_user_sgpr_dispatch_ptr 0
		.amdhsa_user_sgpr_queue_ptr 0
		.amdhsa_user_sgpr_kernarg_segment_ptr 1
		.amdhsa_user_sgpr_dispatch_id 0
		.amdhsa_user_sgpr_kernarg_preload_length 0
		.amdhsa_user_sgpr_kernarg_preload_offset 0
		.amdhsa_user_sgpr_private_segment_size 0
		.amdhsa_wavefront_size32 1
		.amdhsa_uses_dynamic_stack 0
		.amdhsa_enable_private_segment 0
		.amdhsa_system_sgpr_workgroup_id_x 1
		.amdhsa_system_sgpr_workgroup_id_y 0
		.amdhsa_system_sgpr_workgroup_id_z 0
		.amdhsa_system_sgpr_workgroup_info 0
		.amdhsa_system_vgpr_workitem_id 0
		.amdhsa_next_free_vgpr 1
		.amdhsa_next_free_sgpr 1
		.amdhsa_named_barrier_count 0
		.amdhsa_reserve_vcc 0
		.amdhsa_float_round_mode_32 0
		.amdhsa_float_round_mode_16_64 0
		.amdhsa_float_denorm_mode_32 3
		.amdhsa_float_denorm_mode_16_64 3
		.amdhsa_fp16_overflow 0
		.amdhsa_memory_ordered 1
		.amdhsa_forward_progress 1
		.amdhsa_inst_pref_size 0
		.amdhsa_round_robin_scheduling 0
		.amdhsa_exception_fp_ieee_invalid_op 0
		.amdhsa_exception_fp_denorm_src 0
		.amdhsa_exception_fp_ieee_div_zero 0
		.amdhsa_exception_fp_ieee_overflow 0
		.amdhsa_exception_fp_ieee_underflow 0
		.amdhsa_exception_fp_ieee_inexact 0
		.amdhsa_exception_int_div_zero 0
	.end_amdhsa_kernel
	.section	.text._ZN7rocprim17ROCPRIM_400000_NS6detail17trampoline_kernelINS0_14default_configENS1_22reduce_config_selectorIfEEZNS1_11reduce_implILb1ES3_PfS7_fN6thrust23THRUST_200600_302600_NS4plusIfEEEE10hipError_tPvRmT1_T2_T3_mT4_P12ihipStream_tbEUlT_E0_NS1_11comp_targetILNS1_3genE2ELNS1_11target_archE906ELNS1_3gpuE6ELNS1_3repE0EEENS1_30default_config_static_selectorELNS0_4arch9wavefront6targetE0EEEvSF_,"axG",@progbits,_ZN7rocprim17ROCPRIM_400000_NS6detail17trampoline_kernelINS0_14default_configENS1_22reduce_config_selectorIfEEZNS1_11reduce_implILb1ES3_PfS7_fN6thrust23THRUST_200600_302600_NS4plusIfEEEE10hipError_tPvRmT1_T2_T3_mT4_P12ihipStream_tbEUlT_E0_NS1_11comp_targetILNS1_3genE2ELNS1_11target_archE906ELNS1_3gpuE6ELNS1_3repE0EEENS1_30default_config_static_selectorELNS0_4arch9wavefront6targetE0EEEvSF_,comdat
.Lfunc_end4:
	.size	_ZN7rocprim17ROCPRIM_400000_NS6detail17trampoline_kernelINS0_14default_configENS1_22reduce_config_selectorIfEEZNS1_11reduce_implILb1ES3_PfS7_fN6thrust23THRUST_200600_302600_NS4plusIfEEEE10hipError_tPvRmT1_T2_T3_mT4_P12ihipStream_tbEUlT_E0_NS1_11comp_targetILNS1_3genE2ELNS1_11target_archE906ELNS1_3gpuE6ELNS1_3repE0EEENS1_30default_config_static_selectorELNS0_4arch9wavefront6targetE0EEEvSF_, .Lfunc_end4-_ZN7rocprim17ROCPRIM_400000_NS6detail17trampoline_kernelINS0_14default_configENS1_22reduce_config_selectorIfEEZNS1_11reduce_implILb1ES3_PfS7_fN6thrust23THRUST_200600_302600_NS4plusIfEEEE10hipError_tPvRmT1_T2_T3_mT4_P12ihipStream_tbEUlT_E0_NS1_11comp_targetILNS1_3genE2ELNS1_11target_archE906ELNS1_3gpuE6ELNS1_3repE0EEENS1_30default_config_static_selectorELNS0_4arch9wavefront6targetE0EEEvSF_
                                        ; -- End function
	.set _ZN7rocprim17ROCPRIM_400000_NS6detail17trampoline_kernelINS0_14default_configENS1_22reduce_config_selectorIfEEZNS1_11reduce_implILb1ES3_PfS7_fN6thrust23THRUST_200600_302600_NS4plusIfEEEE10hipError_tPvRmT1_T2_T3_mT4_P12ihipStream_tbEUlT_E0_NS1_11comp_targetILNS1_3genE2ELNS1_11target_archE906ELNS1_3gpuE6ELNS1_3repE0EEENS1_30default_config_static_selectorELNS0_4arch9wavefront6targetE0EEEvSF_.num_vgpr, 0
	.set _ZN7rocprim17ROCPRIM_400000_NS6detail17trampoline_kernelINS0_14default_configENS1_22reduce_config_selectorIfEEZNS1_11reduce_implILb1ES3_PfS7_fN6thrust23THRUST_200600_302600_NS4plusIfEEEE10hipError_tPvRmT1_T2_T3_mT4_P12ihipStream_tbEUlT_E0_NS1_11comp_targetILNS1_3genE2ELNS1_11target_archE906ELNS1_3gpuE6ELNS1_3repE0EEENS1_30default_config_static_selectorELNS0_4arch9wavefront6targetE0EEEvSF_.num_agpr, 0
	.set _ZN7rocprim17ROCPRIM_400000_NS6detail17trampoline_kernelINS0_14default_configENS1_22reduce_config_selectorIfEEZNS1_11reduce_implILb1ES3_PfS7_fN6thrust23THRUST_200600_302600_NS4plusIfEEEE10hipError_tPvRmT1_T2_T3_mT4_P12ihipStream_tbEUlT_E0_NS1_11comp_targetILNS1_3genE2ELNS1_11target_archE906ELNS1_3gpuE6ELNS1_3repE0EEENS1_30default_config_static_selectorELNS0_4arch9wavefront6targetE0EEEvSF_.numbered_sgpr, 0
	.set _ZN7rocprim17ROCPRIM_400000_NS6detail17trampoline_kernelINS0_14default_configENS1_22reduce_config_selectorIfEEZNS1_11reduce_implILb1ES3_PfS7_fN6thrust23THRUST_200600_302600_NS4plusIfEEEE10hipError_tPvRmT1_T2_T3_mT4_P12ihipStream_tbEUlT_E0_NS1_11comp_targetILNS1_3genE2ELNS1_11target_archE906ELNS1_3gpuE6ELNS1_3repE0EEENS1_30default_config_static_selectorELNS0_4arch9wavefront6targetE0EEEvSF_.num_named_barrier, 0
	.set _ZN7rocprim17ROCPRIM_400000_NS6detail17trampoline_kernelINS0_14default_configENS1_22reduce_config_selectorIfEEZNS1_11reduce_implILb1ES3_PfS7_fN6thrust23THRUST_200600_302600_NS4plusIfEEEE10hipError_tPvRmT1_T2_T3_mT4_P12ihipStream_tbEUlT_E0_NS1_11comp_targetILNS1_3genE2ELNS1_11target_archE906ELNS1_3gpuE6ELNS1_3repE0EEENS1_30default_config_static_selectorELNS0_4arch9wavefront6targetE0EEEvSF_.private_seg_size, 0
	.set _ZN7rocprim17ROCPRIM_400000_NS6detail17trampoline_kernelINS0_14default_configENS1_22reduce_config_selectorIfEEZNS1_11reduce_implILb1ES3_PfS7_fN6thrust23THRUST_200600_302600_NS4plusIfEEEE10hipError_tPvRmT1_T2_T3_mT4_P12ihipStream_tbEUlT_E0_NS1_11comp_targetILNS1_3genE2ELNS1_11target_archE906ELNS1_3gpuE6ELNS1_3repE0EEENS1_30default_config_static_selectorELNS0_4arch9wavefront6targetE0EEEvSF_.uses_vcc, 0
	.set _ZN7rocprim17ROCPRIM_400000_NS6detail17trampoline_kernelINS0_14default_configENS1_22reduce_config_selectorIfEEZNS1_11reduce_implILb1ES3_PfS7_fN6thrust23THRUST_200600_302600_NS4plusIfEEEE10hipError_tPvRmT1_T2_T3_mT4_P12ihipStream_tbEUlT_E0_NS1_11comp_targetILNS1_3genE2ELNS1_11target_archE906ELNS1_3gpuE6ELNS1_3repE0EEENS1_30default_config_static_selectorELNS0_4arch9wavefront6targetE0EEEvSF_.uses_flat_scratch, 0
	.set _ZN7rocprim17ROCPRIM_400000_NS6detail17trampoline_kernelINS0_14default_configENS1_22reduce_config_selectorIfEEZNS1_11reduce_implILb1ES3_PfS7_fN6thrust23THRUST_200600_302600_NS4plusIfEEEE10hipError_tPvRmT1_T2_T3_mT4_P12ihipStream_tbEUlT_E0_NS1_11comp_targetILNS1_3genE2ELNS1_11target_archE906ELNS1_3gpuE6ELNS1_3repE0EEENS1_30default_config_static_selectorELNS0_4arch9wavefront6targetE0EEEvSF_.has_dyn_sized_stack, 0
	.set _ZN7rocprim17ROCPRIM_400000_NS6detail17trampoline_kernelINS0_14default_configENS1_22reduce_config_selectorIfEEZNS1_11reduce_implILb1ES3_PfS7_fN6thrust23THRUST_200600_302600_NS4plusIfEEEE10hipError_tPvRmT1_T2_T3_mT4_P12ihipStream_tbEUlT_E0_NS1_11comp_targetILNS1_3genE2ELNS1_11target_archE906ELNS1_3gpuE6ELNS1_3repE0EEENS1_30default_config_static_selectorELNS0_4arch9wavefront6targetE0EEEvSF_.has_recursion, 0
	.set _ZN7rocprim17ROCPRIM_400000_NS6detail17trampoline_kernelINS0_14default_configENS1_22reduce_config_selectorIfEEZNS1_11reduce_implILb1ES3_PfS7_fN6thrust23THRUST_200600_302600_NS4plusIfEEEE10hipError_tPvRmT1_T2_T3_mT4_P12ihipStream_tbEUlT_E0_NS1_11comp_targetILNS1_3genE2ELNS1_11target_archE906ELNS1_3gpuE6ELNS1_3repE0EEENS1_30default_config_static_selectorELNS0_4arch9wavefront6targetE0EEEvSF_.has_indirect_call, 0
	.section	.AMDGPU.csdata,"",@progbits
; Kernel info:
; codeLenInByte = 0
; TotalNumSgprs: 0
; NumVgprs: 0
; ScratchSize: 0
; MemoryBound: 0
; FloatMode: 240
; IeeeMode: 1
; LDSByteSize: 0 bytes/workgroup (compile time only)
; SGPRBlocks: 0
; VGPRBlocks: 0
; NumSGPRsForWavesPerEU: 1
; NumVGPRsForWavesPerEU: 1
; NamedBarCnt: 0
; Occupancy: 16
; WaveLimiterHint : 0
; COMPUTE_PGM_RSRC2:SCRATCH_EN: 0
; COMPUTE_PGM_RSRC2:USER_SGPR: 2
; COMPUTE_PGM_RSRC2:TRAP_HANDLER: 0
; COMPUTE_PGM_RSRC2:TGID_X_EN: 1
; COMPUTE_PGM_RSRC2:TGID_Y_EN: 0
; COMPUTE_PGM_RSRC2:TGID_Z_EN: 0
; COMPUTE_PGM_RSRC2:TIDIG_COMP_CNT: 0
	.section	.text._ZN7rocprim17ROCPRIM_400000_NS6detail17trampoline_kernelINS0_14default_configENS1_22reduce_config_selectorIfEEZNS1_11reduce_implILb1ES3_PfS7_fN6thrust23THRUST_200600_302600_NS4plusIfEEEE10hipError_tPvRmT1_T2_T3_mT4_P12ihipStream_tbEUlT_E0_NS1_11comp_targetILNS1_3genE10ELNS1_11target_archE1201ELNS1_3gpuE5ELNS1_3repE0EEENS1_30default_config_static_selectorELNS0_4arch9wavefront6targetE0EEEvSF_,"axG",@progbits,_ZN7rocprim17ROCPRIM_400000_NS6detail17trampoline_kernelINS0_14default_configENS1_22reduce_config_selectorIfEEZNS1_11reduce_implILb1ES3_PfS7_fN6thrust23THRUST_200600_302600_NS4plusIfEEEE10hipError_tPvRmT1_T2_T3_mT4_P12ihipStream_tbEUlT_E0_NS1_11comp_targetILNS1_3genE10ELNS1_11target_archE1201ELNS1_3gpuE5ELNS1_3repE0EEENS1_30default_config_static_selectorELNS0_4arch9wavefront6targetE0EEEvSF_,comdat
	.protected	_ZN7rocprim17ROCPRIM_400000_NS6detail17trampoline_kernelINS0_14default_configENS1_22reduce_config_selectorIfEEZNS1_11reduce_implILb1ES3_PfS7_fN6thrust23THRUST_200600_302600_NS4plusIfEEEE10hipError_tPvRmT1_T2_T3_mT4_P12ihipStream_tbEUlT_E0_NS1_11comp_targetILNS1_3genE10ELNS1_11target_archE1201ELNS1_3gpuE5ELNS1_3repE0EEENS1_30default_config_static_selectorELNS0_4arch9wavefront6targetE0EEEvSF_ ; -- Begin function _ZN7rocprim17ROCPRIM_400000_NS6detail17trampoline_kernelINS0_14default_configENS1_22reduce_config_selectorIfEEZNS1_11reduce_implILb1ES3_PfS7_fN6thrust23THRUST_200600_302600_NS4plusIfEEEE10hipError_tPvRmT1_T2_T3_mT4_P12ihipStream_tbEUlT_E0_NS1_11comp_targetILNS1_3genE10ELNS1_11target_archE1201ELNS1_3gpuE5ELNS1_3repE0EEENS1_30default_config_static_selectorELNS0_4arch9wavefront6targetE0EEEvSF_
	.globl	_ZN7rocprim17ROCPRIM_400000_NS6detail17trampoline_kernelINS0_14default_configENS1_22reduce_config_selectorIfEEZNS1_11reduce_implILb1ES3_PfS7_fN6thrust23THRUST_200600_302600_NS4plusIfEEEE10hipError_tPvRmT1_T2_T3_mT4_P12ihipStream_tbEUlT_E0_NS1_11comp_targetILNS1_3genE10ELNS1_11target_archE1201ELNS1_3gpuE5ELNS1_3repE0EEENS1_30default_config_static_selectorELNS0_4arch9wavefront6targetE0EEEvSF_
	.p2align	8
	.type	_ZN7rocprim17ROCPRIM_400000_NS6detail17trampoline_kernelINS0_14default_configENS1_22reduce_config_selectorIfEEZNS1_11reduce_implILb1ES3_PfS7_fN6thrust23THRUST_200600_302600_NS4plusIfEEEE10hipError_tPvRmT1_T2_T3_mT4_P12ihipStream_tbEUlT_E0_NS1_11comp_targetILNS1_3genE10ELNS1_11target_archE1201ELNS1_3gpuE5ELNS1_3repE0EEENS1_30default_config_static_selectorELNS0_4arch9wavefront6targetE0EEEvSF_,@function
_ZN7rocprim17ROCPRIM_400000_NS6detail17trampoline_kernelINS0_14default_configENS1_22reduce_config_selectorIfEEZNS1_11reduce_implILb1ES3_PfS7_fN6thrust23THRUST_200600_302600_NS4plusIfEEEE10hipError_tPvRmT1_T2_T3_mT4_P12ihipStream_tbEUlT_E0_NS1_11comp_targetILNS1_3genE10ELNS1_11target_archE1201ELNS1_3gpuE5ELNS1_3repE0EEENS1_30default_config_static_selectorELNS0_4arch9wavefront6targetE0EEEvSF_: ; @_ZN7rocprim17ROCPRIM_400000_NS6detail17trampoline_kernelINS0_14default_configENS1_22reduce_config_selectorIfEEZNS1_11reduce_implILb1ES3_PfS7_fN6thrust23THRUST_200600_302600_NS4plusIfEEEE10hipError_tPvRmT1_T2_T3_mT4_P12ihipStream_tbEUlT_E0_NS1_11comp_targetILNS1_3genE10ELNS1_11target_archE1201ELNS1_3gpuE5ELNS1_3repE0EEENS1_30default_config_static_selectorELNS0_4arch9wavefront6targetE0EEEvSF_
; %bb.0:
	.section	.rodata,"a",@progbits
	.p2align	6, 0x0
	.amdhsa_kernel _ZN7rocprim17ROCPRIM_400000_NS6detail17trampoline_kernelINS0_14default_configENS1_22reduce_config_selectorIfEEZNS1_11reduce_implILb1ES3_PfS7_fN6thrust23THRUST_200600_302600_NS4plusIfEEEE10hipError_tPvRmT1_T2_T3_mT4_P12ihipStream_tbEUlT_E0_NS1_11comp_targetILNS1_3genE10ELNS1_11target_archE1201ELNS1_3gpuE5ELNS1_3repE0EEENS1_30default_config_static_selectorELNS0_4arch9wavefront6targetE0EEEvSF_
		.amdhsa_group_segment_fixed_size 0
		.amdhsa_private_segment_fixed_size 0
		.amdhsa_kernarg_size 56
		.amdhsa_user_sgpr_count 2
		.amdhsa_user_sgpr_dispatch_ptr 0
		.amdhsa_user_sgpr_queue_ptr 0
		.amdhsa_user_sgpr_kernarg_segment_ptr 1
		.amdhsa_user_sgpr_dispatch_id 0
		.amdhsa_user_sgpr_kernarg_preload_length 0
		.amdhsa_user_sgpr_kernarg_preload_offset 0
		.amdhsa_user_sgpr_private_segment_size 0
		.amdhsa_wavefront_size32 1
		.amdhsa_uses_dynamic_stack 0
		.amdhsa_enable_private_segment 0
		.amdhsa_system_sgpr_workgroup_id_x 1
		.amdhsa_system_sgpr_workgroup_id_y 0
		.amdhsa_system_sgpr_workgroup_id_z 0
		.amdhsa_system_sgpr_workgroup_info 0
		.amdhsa_system_vgpr_workitem_id 0
		.amdhsa_next_free_vgpr 1
		.amdhsa_next_free_sgpr 1
		.amdhsa_named_barrier_count 0
		.amdhsa_reserve_vcc 0
		.amdhsa_float_round_mode_32 0
		.amdhsa_float_round_mode_16_64 0
		.amdhsa_float_denorm_mode_32 3
		.amdhsa_float_denorm_mode_16_64 3
		.amdhsa_fp16_overflow 0
		.amdhsa_memory_ordered 1
		.amdhsa_forward_progress 1
		.amdhsa_inst_pref_size 0
		.amdhsa_round_robin_scheduling 0
		.amdhsa_exception_fp_ieee_invalid_op 0
		.amdhsa_exception_fp_denorm_src 0
		.amdhsa_exception_fp_ieee_div_zero 0
		.amdhsa_exception_fp_ieee_overflow 0
		.amdhsa_exception_fp_ieee_underflow 0
		.amdhsa_exception_fp_ieee_inexact 0
		.amdhsa_exception_int_div_zero 0
	.end_amdhsa_kernel
	.section	.text._ZN7rocprim17ROCPRIM_400000_NS6detail17trampoline_kernelINS0_14default_configENS1_22reduce_config_selectorIfEEZNS1_11reduce_implILb1ES3_PfS7_fN6thrust23THRUST_200600_302600_NS4plusIfEEEE10hipError_tPvRmT1_T2_T3_mT4_P12ihipStream_tbEUlT_E0_NS1_11comp_targetILNS1_3genE10ELNS1_11target_archE1201ELNS1_3gpuE5ELNS1_3repE0EEENS1_30default_config_static_selectorELNS0_4arch9wavefront6targetE0EEEvSF_,"axG",@progbits,_ZN7rocprim17ROCPRIM_400000_NS6detail17trampoline_kernelINS0_14default_configENS1_22reduce_config_selectorIfEEZNS1_11reduce_implILb1ES3_PfS7_fN6thrust23THRUST_200600_302600_NS4plusIfEEEE10hipError_tPvRmT1_T2_T3_mT4_P12ihipStream_tbEUlT_E0_NS1_11comp_targetILNS1_3genE10ELNS1_11target_archE1201ELNS1_3gpuE5ELNS1_3repE0EEENS1_30default_config_static_selectorELNS0_4arch9wavefront6targetE0EEEvSF_,comdat
.Lfunc_end5:
	.size	_ZN7rocprim17ROCPRIM_400000_NS6detail17trampoline_kernelINS0_14default_configENS1_22reduce_config_selectorIfEEZNS1_11reduce_implILb1ES3_PfS7_fN6thrust23THRUST_200600_302600_NS4plusIfEEEE10hipError_tPvRmT1_T2_T3_mT4_P12ihipStream_tbEUlT_E0_NS1_11comp_targetILNS1_3genE10ELNS1_11target_archE1201ELNS1_3gpuE5ELNS1_3repE0EEENS1_30default_config_static_selectorELNS0_4arch9wavefront6targetE0EEEvSF_, .Lfunc_end5-_ZN7rocprim17ROCPRIM_400000_NS6detail17trampoline_kernelINS0_14default_configENS1_22reduce_config_selectorIfEEZNS1_11reduce_implILb1ES3_PfS7_fN6thrust23THRUST_200600_302600_NS4plusIfEEEE10hipError_tPvRmT1_T2_T3_mT4_P12ihipStream_tbEUlT_E0_NS1_11comp_targetILNS1_3genE10ELNS1_11target_archE1201ELNS1_3gpuE5ELNS1_3repE0EEENS1_30default_config_static_selectorELNS0_4arch9wavefront6targetE0EEEvSF_
                                        ; -- End function
	.set _ZN7rocprim17ROCPRIM_400000_NS6detail17trampoline_kernelINS0_14default_configENS1_22reduce_config_selectorIfEEZNS1_11reduce_implILb1ES3_PfS7_fN6thrust23THRUST_200600_302600_NS4plusIfEEEE10hipError_tPvRmT1_T2_T3_mT4_P12ihipStream_tbEUlT_E0_NS1_11comp_targetILNS1_3genE10ELNS1_11target_archE1201ELNS1_3gpuE5ELNS1_3repE0EEENS1_30default_config_static_selectorELNS0_4arch9wavefront6targetE0EEEvSF_.num_vgpr, 0
	.set _ZN7rocprim17ROCPRIM_400000_NS6detail17trampoline_kernelINS0_14default_configENS1_22reduce_config_selectorIfEEZNS1_11reduce_implILb1ES3_PfS7_fN6thrust23THRUST_200600_302600_NS4plusIfEEEE10hipError_tPvRmT1_T2_T3_mT4_P12ihipStream_tbEUlT_E0_NS1_11comp_targetILNS1_3genE10ELNS1_11target_archE1201ELNS1_3gpuE5ELNS1_3repE0EEENS1_30default_config_static_selectorELNS0_4arch9wavefront6targetE0EEEvSF_.num_agpr, 0
	.set _ZN7rocprim17ROCPRIM_400000_NS6detail17trampoline_kernelINS0_14default_configENS1_22reduce_config_selectorIfEEZNS1_11reduce_implILb1ES3_PfS7_fN6thrust23THRUST_200600_302600_NS4plusIfEEEE10hipError_tPvRmT1_T2_T3_mT4_P12ihipStream_tbEUlT_E0_NS1_11comp_targetILNS1_3genE10ELNS1_11target_archE1201ELNS1_3gpuE5ELNS1_3repE0EEENS1_30default_config_static_selectorELNS0_4arch9wavefront6targetE0EEEvSF_.numbered_sgpr, 0
	.set _ZN7rocprim17ROCPRIM_400000_NS6detail17trampoline_kernelINS0_14default_configENS1_22reduce_config_selectorIfEEZNS1_11reduce_implILb1ES3_PfS7_fN6thrust23THRUST_200600_302600_NS4plusIfEEEE10hipError_tPvRmT1_T2_T3_mT4_P12ihipStream_tbEUlT_E0_NS1_11comp_targetILNS1_3genE10ELNS1_11target_archE1201ELNS1_3gpuE5ELNS1_3repE0EEENS1_30default_config_static_selectorELNS0_4arch9wavefront6targetE0EEEvSF_.num_named_barrier, 0
	.set _ZN7rocprim17ROCPRIM_400000_NS6detail17trampoline_kernelINS0_14default_configENS1_22reduce_config_selectorIfEEZNS1_11reduce_implILb1ES3_PfS7_fN6thrust23THRUST_200600_302600_NS4plusIfEEEE10hipError_tPvRmT1_T2_T3_mT4_P12ihipStream_tbEUlT_E0_NS1_11comp_targetILNS1_3genE10ELNS1_11target_archE1201ELNS1_3gpuE5ELNS1_3repE0EEENS1_30default_config_static_selectorELNS0_4arch9wavefront6targetE0EEEvSF_.private_seg_size, 0
	.set _ZN7rocprim17ROCPRIM_400000_NS6detail17trampoline_kernelINS0_14default_configENS1_22reduce_config_selectorIfEEZNS1_11reduce_implILb1ES3_PfS7_fN6thrust23THRUST_200600_302600_NS4plusIfEEEE10hipError_tPvRmT1_T2_T3_mT4_P12ihipStream_tbEUlT_E0_NS1_11comp_targetILNS1_3genE10ELNS1_11target_archE1201ELNS1_3gpuE5ELNS1_3repE0EEENS1_30default_config_static_selectorELNS0_4arch9wavefront6targetE0EEEvSF_.uses_vcc, 0
	.set _ZN7rocprim17ROCPRIM_400000_NS6detail17trampoline_kernelINS0_14default_configENS1_22reduce_config_selectorIfEEZNS1_11reduce_implILb1ES3_PfS7_fN6thrust23THRUST_200600_302600_NS4plusIfEEEE10hipError_tPvRmT1_T2_T3_mT4_P12ihipStream_tbEUlT_E0_NS1_11comp_targetILNS1_3genE10ELNS1_11target_archE1201ELNS1_3gpuE5ELNS1_3repE0EEENS1_30default_config_static_selectorELNS0_4arch9wavefront6targetE0EEEvSF_.uses_flat_scratch, 0
	.set _ZN7rocprim17ROCPRIM_400000_NS6detail17trampoline_kernelINS0_14default_configENS1_22reduce_config_selectorIfEEZNS1_11reduce_implILb1ES3_PfS7_fN6thrust23THRUST_200600_302600_NS4plusIfEEEE10hipError_tPvRmT1_T2_T3_mT4_P12ihipStream_tbEUlT_E0_NS1_11comp_targetILNS1_3genE10ELNS1_11target_archE1201ELNS1_3gpuE5ELNS1_3repE0EEENS1_30default_config_static_selectorELNS0_4arch9wavefront6targetE0EEEvSF_.has_dyn_sized_stack, 0
	.set _ZN7rocprim17ROCPRIM_400000_NS6detail17trampoline_kernelINS0_14default_configENS1_22reduce_config_selectorIfEEZNS1_11reduce_implILb1ES3_PfS7_fN6thrust23THRUST_200600_302600_NS4plusIfEEEE10hipError_tPvRmT1_T2_T3_mT4_P12ihipStream_tbEUlT_E0_NS1_11comp_targetILNS1_3genE10ELNS1_11target_archE1201ELNS1_3gpuE5ELNS1_3repE0EEENS1_30default_config_static_selectorELNS0_4arch9wavefront6targetE0EEEvSF_.has_recursion, 0
	.set _ZN7rocprim17ROCPRIM_400000_NS6detail17trampoline_kernelINS0_14default_configENS1_22reduce_config_selectorIfEEZNS1_11reduce_implILb1ES3_PfS7_fN6thrust23THRUST_200600_302600_NS4plusIfEEEE10hipError_tPvRmT1_T2_T3_mT4_P12ihipStream_tbEUlT_E0_NS1_11comp_targetILNS1_3genE10ELNS1_11target_archE1201ELNS1_3gpuE5ELNS1_3repE0EEENS1_30default_config_static_selectorELNS0_4arch9wavefront6targetE0EEEvSF_.has_indirect_call, 0
	.section	.AMDGPU.csdata,"",@progbits
; Kernel info:
; codeLenInByte = 0
; TotalNumSgprs: 0
; NumVgprs: 0
; ScratchSize: 0
; MemoryBound: 0
; FloatMode: 240
; IeeeMode: 1
; LDSByteSize: 0 bytes/workgroup (compile time only)
; SGPRBlocks: 0
; VGPRBlocks: 0
; NumSGPRsForWavesPerEU: 1
; NumVGPRsForWavesPerEU: 1
; NamedBarCnt: 0
; Occupancy: 16
; WaveLimiterHint : 0
; COMPUTE_PGM_RSRC2:SCRATCH_EN: 0
; COMPUTE_PGM_RSRC2:USER_SGPR: 2
; COMPUTE_PGM_RSRC2:TRAP_HANDLER: 0
; COMPUTE_PGM_RSRC2:TGID_X_EN: 1
; COMPUTE_PGM_RSRC2:TGID_Y_EN: 0
; COMPUTE_PGM_RSRC2:TGID_Z_EN: 0
; COMPUTE_PGM_RSRC2:TIDIG_COMP_CNT: 0
	.section	.text._ZN7rocprim17ROCPRIM_400000_NS6detail17trampoline_kernelINS0_14default_configENS1_22reduce_config_selectorIfEEZNS1_11reduce_implILb1ES3_PfS7_fN6thrust23THRUST_200600_302600_NS4plusIfEEEE10hipError_tPvRmT1_T2_T3_mT4_P12ihipStream_tbEUlT_E0_NS1_11comp_targetILNS1_3genE10ELNS1_11target_archE1200ELNS1_3gpuE4ELNS1_3repE0EEENS1_30default_config_static_selectorELNS0_4arch9wavefront6targetE0EEEvSF_,"axG",@progbits,_ZN7rocprim17ROCPRIM_400000_NS6detail17trampoline_kernelINS0_14default_configENS1_22reduce_config_selectorIfEEZNS1_11reduce_implILb1ES3_PfS7_fN6thrust23THRUST_200600_302600_NS4plusIfEEEE10hipError_tPvRmT1_T2_T3_mT4_P12ihipStream_tbEUlT_E0_NS1_11comp_targetILNS1_3genE10ELNS1_11target_archE1200ELNS1_3gpuE4ELNS1_3repE0EEENS1_30default_config_static_selectorELNS0_4arch9wavefront6targetE0EEEvSF_,comdat
	.protected	_ZN7rocprim17ROCPRIM_400000_NS6detail17trampoline_kernelINS0_14default_configENS1_22reduce_config_selectorIfEEZNS1_11reduce_implILb1ES3_PfS7_fN6thrust23THRUST_200600_302600_NS4plusIfEEEE10hipError_tPvRmT1_T2_T3_mT4_P12ihipStream_tbEUlT_E0_NS1_11comp_targetILNS1_3genE10ELNS1_11target_archE1200ELNS1_3gpuE4ELNS1_3repE0EEENS1_30default_config_static_selectorELNS0_4arch9wavefront6targetE0EEEvSF_ ; -- Begin function _ZN7rocprim17ROCPRIM_400000_NS6detail17trampoline_kernelINS0_14default_configENS1_22reduce_config_selectorIfEEZNS1_11reduce_implILb1ES3_PfS7_fN6thrust23THRUST_200600_302600_NS4plusIfEEEE10hipError_tPvRmT1_T2_T3_mT4_P12ihipStream_tbEUlT_E0_NS1_11comp_targetILNS1_3genE10ELNS1_11target_archE1200ELNS1_3gpuE4ELNS1_3repE0EEENS1_30default_config_static_selectorELNS0_4arch9wavefront6targetE0EEEvSF_
	.globl	_ZN7rocprim17ROCPRIM_400000_NS6detail17trampoline_kernelINS0_14default_configENS1_22reduce_config_selectorIfEEZNS1_11reduce_implILb1ES3_PfS7_fN6thrust23THRUST_200600_302600_NS4plusIfEEEE10hipError_tPvRmT1_T2_T3_mT4_P12ihipStream_tbEUlT_E0_NS1_11comp_targetILNS1_3genE10ELNS1_11target_archE1200ELNS1_3gpuE4ELNS1_3repE0EEENS1_30default_config_static_selectorELNS0_4arch9wavefront6targetE0EEEvSF_
	.p2align	8
	.type	_ZN7rocprim17ROCPRIM_400000_NS6detail17trampoline_kernelINS0_14default_configENS1_22reduce_config_selectorIfEEZNS1_11reduce_implILb1ES3_PfS7_fN6thrust23THRUST_200600_302600_NS4plusIfEEEE10hipError_tPvRmT1_T2_T3_mT4_P12ihipStream_tbEUlT_E0_NS1_11comp_targetILNS1_3genE10ELNS1_11target_archE1200ELNS1_3gpuE4ELNS1_3repE0EEENS1_30default_config_static_selectorELNS0_4arch9wavefront6targetE0EEEvSF_,@function
_ZN7rocprim17ROCPRIM_400000_NS6detail17trampoline_kernelINS0_14default_configENS1_22reduce_config_selectorIfEEZNS1_11reduce_implILb1ES3_PfS7_fN6thrust23THRUST_200600_302600_NS4plusIfEEEE10hipError_tPvRmT1_T2_T3_mT4_P12ihipStream_tbEUlT_E0_NS1_11comp_targetILNS1_3genE10ELNS1_11target_archE1200ELNS1_3gpuE4ELNS1_3repE0EEENS1_30default_config_static_selectorELNS0_4arch9wavefront6targetE0EEEvSF_: ; @_ZN7rocprim17ROCPRIM_400000_NS6detail17trampoline_kernelINS0_14default_configENS1_22reduce_config_selectorIfEEZNS1_11reduce_implILb1ES3_PfS7_fN6thrust23THRUST_200600_302600_NS4plusIfEEEE10hipError_tPvRmT1_T2_T3_mT4_P12ihipStream_tbEUlT_E0_NS1_11comp_targetILNS1_3genE10ELNS1_11target_archE1200ELNS1_3gpuE4ELNS1_3repE0EEENS1_30default_config_static_selectorELNS0_4arch9wavefront6targetE0EEEvSF_
; %bb.0:
	.section	.rodata,"a",@progbits
	.p2align	6, 0x0
	.amdhsa_kernel _ZN7rocprim17ROCPRIM_400000_NS6detail17trampoline_kernelINS0_14default_configENS1_22reduce_config_selectorIfEEZNS1_11reduce_implILb1ES3_PfS7_fN6thrust23THRUST_200600_302600_NS4plusIfEEEE10hipError_tPvRmT1_T2_T3_mT4_P12ihipStream_tbEUlT_E0_NS1_11comp_targetILNS1_3genE10ELNS1_11target_archE1200ELNS1_3gpuE4ELNS1_3repE0EEENS1_30default_config_static_selectorELNS0_4arch9wavefront6targetE0EEEvSF_
		.amdhsa_group_segment_fixed_size 0
		.amdhsa_private_segment_fixed_size 0
		.amdhsa_kernarg_size 56
		.amdhsa_user_sgpr_count 2
		.amdhsa_user_sgpr_dispatch_ptr 0
		.amdhsa_user_sgpr_queue_ptr 0
		.amdhsa_user_sgpr_kernarg_segment_ptr 1
		.amdhsa_user_sgpr_dispatch_id 0
		.amdhsa_user_sgpr_kernarg_preload_length 0
		.amdhsa_user_sgpr_kernarg_preload_offset 0
		.amdhsa_user_sgpr_private_segment_size 0
		.amdhsa_wavefront_size32 1
		.amdhsa_uses_dynamic_stack 0
		.amdhsa_enable_private_segment 0
		.amdhsa_system_sgpr_workgroup_id_x 1
		.amdhsa_system_sgpr_workgroup_id_y 0
		.amdhsa_system_sgpr_workgroup_id_z 0
		.amdhsa_system_sgpr_workgroup_info 0
		.amdhsa_system_vgpr_workitem_id 0
		.amdhsa_next_free_vgpr 1
		.amdhsa_next_free_sgpr 1
		.amdhsa_named_barrier_count 0
		.amdhsa_reserve_vcc 0
		.amdhsa_float_round_mode_32 0
		.amdhsa_float_round_mode_16_64 0
		.amdhsa_float_denorm_mode_32 3
		.amdhsa_float_denorm_mode_16_64 3
		.amdhsa_fp16_overflow 0
		.amdhsa_memory_ordered 1
		.amdhsa_forward_progress 1
		.amdhsa_inst_pref_size 0
		.amdhsa_round_robin_scheduling 0
		.amdhsa_exception_fp_ieee_invalid_op 0
		.amdhsa_exception_fp_denorm_src 0
		.amdhsa_exception_fp_ieee_div_zero 0
		.amdhsa_exception_fp_ieee_overflow 0
		.amdhsa_exception_fp_ieee_underflow 0
		.amdhsa_exception_fp_ieee_inexact 0
		.amdhsa_exception_int_div_zero 0
	.end_amdhsa_kernel
	.section	.text._ZN7rocprim17ROCPRIM_400000_NS6detail17trampoline_kernelINS0_14default_configENS1_22reduce_config_selectorIfEEZNS1_11reduce_implILb1ES3_PfS7_fN6thrust23THRUST_200600_302600_NS4plusIfEEEE10hipError_tPvRmT1_T2_T3_mT4_P12ihipStream_tbEUlT_E0_NS1_11comp_targetILNS1_3genE10ELNS1_11target_archE1200ELNS1_3gpuE4ELNS1_3repE0EEENS1_30default_config_static_selectorELNS0_4arch9wavefront6targetE0EEEvSF_,"axG",@progbits,_ZN7rocprim17ROCPRIM_400000_NS6detail17trampoline_kernelINS0_14default_configENS1_22reduce_config_selectorIfEEZNS1_11reduce_implILb1ES3_PfS7_fN6thrust23THRUST_200600_302600_NS4plusIfEEEE10hipError_tPvRmT1_T2_T3_mT4_P12ihipStream_tbEUlT_E0_NS1_11comp_targetILNS1_3genE10ELNS1_11target_archE1200ELNS1_3gpuE4ELNS1_3repE0EEENS1_30default_config_static_selectorELNS0_4arch9wavefront6targetE0EEEvSF_,comdat
.Lfunc_end6:
	.size	_ZN7rocprim17ROCPRIM_400000_NS6detail17trampoline_kernelINS0_14default_configENS1_22reduce_config_selectorIfEEZNS1_11reduce_implILb1ES3_PfS7_fN6thrust23THRUST_200600_302600_NS4plusIfEEEE10hipError_tPvRmT1_T2_T3_mT4_P12ihipStream_tbEUlT_E0_NS1_11comp_targetILNS1_3genE10ELNS1_11target_archE1200ELNS1_3gpuE4ELNS1_3repE0EEENS1_30default_config_static_selectorELNS0_4arch9wavefront6targetE0EEEvSF_, .Lfunc_end6-_ZN7rocprim17ROCPRIM_400000_NS6detail17trampoline_kernelINS0_14default_configENS1_22reduce_config_selectorIfEEZNS1_11reduce_implILb1ES3_PfS7_fN6thrust23THRUST_200600_302600_NS4plusIfEEEE10hipError_tPvRmT1_T2_T3_mT4_P12ihipStream_tbEUlT_E0_NS1_11comp_targetILNS1_3genE10ELNS1_11target_archE1200ELNS1_3gpuE4ELNS1_3repE0EEENS1_30default_config_static_selectorELNS0_4arch9wavefront6targetE0EEEvSF_
                                        ; -- End function
	.set _ZN7rocprim17ROCPRIM_400000_NS6detail17trampoline_kernelINS0_14default_configENS1_22reduce_config_selectorIfEEZNS1_11reduce_implILb1ES3_PfS7_fN6thrust23THRUST_200600_302600_NS4plusIfEEEE10hipError_tPvRmT1_T2_T3_mT4_P12ihipStream_tbEUlT_E0_NS1_11comp_targetILNS1_3genE10ELNS1_11target_archE1200ELNS1_3gpuE4ELNS1_3repE0EEENS1_30default_config_static_selectorELNS0_4arch9wavefront6targetE0EEEvSF_.num_vgpr, 0
	.set _ZN7rocprim17ROCPRIM_400000_NS6detail17trampoline_kernelINS0_14default_configENS1_22reduce_config_selectorIfEEZNS1_11reduce_implILb1ES3_PfS7_fN6thrust23THRUST_200600_302600_NS4plusIfEEEE10hipError_tPvRmT1_T2_T3_mT4_P12ihipStream_tbEUlT_E0_NS1_11comp_targetILNS1_3genE10ELNS1_11target_archE1200ELNS1_3gpuE4ELNS1_3repE0EEENS1_30default_config_static_selectorELNS0_4arch9wavefront6targetE0EEEvSF_.num_agpr, 0
	.set _ZN7rocprim17ROCPRIM_400000_NS6detail17trampoline_kernelINS0_14default_configENS1_22reduce_config_selectorIfEEZNS1_11reduce_implILb1ES3_PfS7_fN6thrust23THRUST_200600_302600_NS4plusIfEEEE10hipError_tPvRmT1_T2_T3_mT4_P12ihipStream_tbEUlT_E0_NS1_11comp_targetILNS1_3genE10ELNS1_11target_archE1200ELNS1_3gpuE4ELNS1_3repE0EEENS1_30default_config_static_selectorELNS0_4arch9wavefront6targetE0EEEvSF_.numbered_sgpr, 0
	.set _ZN7rocprim17ROCPRIM_400000_NS6detail17trampoline_kernelINS0_14default_configENS1_22reduce_config_selectorIfEEZNS1_11reduce_implILb1ES3_PfS7_fN6thrust23THRUST_200600_302600_NS4plusIfEEEE10hipError_tPvRmT1_T2_T3_mT4_P12ihipStream_tbEUlT_E0_NS1_11comp_targetILNS1_3genE10ELNS1_11target_archE1200ELNS1_3gpuE4ELNS1_3repE0EEENS1_30default_config_static_selectorELNS0_4arch9wavefront6targetE0EEEvSF_.num_named_barrier, 0
	.set _ZN7rocprim17ROCPRIM_400000_NS6detail17trampoline_kernelINS0_14default_configENS1_22reduce_config_selectorIfEEZNS1_11reduce_implILb1ES3_PfS7_fN6thrust23THRUST_200600_302600_NS4plusIfEEEE10hipError_tPvRmT1_T2_T3_mT4_P12ihipStream_tbEUlT_E0_NS1_11comp_targetILNS1_3genE10ELNS1_11target_archE1200ELNS1_3gpuE4ELNS1_3repE0EEENS1_30default_config_static_selectorELNS0_4arch9wavefront6targetE0EEEvSF_.private_seg_size, 0
	.set _ZN7rocprim17ROCPRIM_400000_NS6detail17trampoline_kernelINS0_14default_configENS1_22reduce_config_selectorIfEEZNS1_11reduce_implILb1ES3_PfS7_fN6thrust23THRUST_200600_302600_NS4plusIfEEEE10hipError_tPvRmT1_T2_T3_mT4_P12ihipStream_tbEUlT_E0_NS1_11comp_targetILNS1_3genE10ELNS1_11target_archE1200ELNS1_3gpuE4ELNS1_3repE0EEENS1_30default_config_static_selectorELNS0_4arch9wavefront6targetE0EEEvSF_.uses_vcc, 0
	.set _ZN7rocprim17ROCPRIM_400000_NS6detail17trampoline_kernelINS0_14default_configENS1_22reduce_config_selectorIfEEZNS1_11reduce_implILb1ES3_PfS7_fN6thrust23THRUST_200600_302600_NS4plusIfEEEE10hipError_tPvRmT1_T2_T3_mT4_P12ihipStream_tbEUlT_E0_NS1_11comp_targetILNS1_3genE10ELNS1_11target_archE1200ELNS1_3gpuE4ELNS1_3repE0EEENS1_30default_config_static_selectorELNS0_4arch9wavefront6targetE0EEEvSF_.uses_flat_scratch, 0
	.set _ZN7rocprim17ROCPRIM_400000_NS6detail17trampoline_kernelINS0_14default_configENS1_22reduce_config_selectorIfEEZNS1_11reduce_implILb1ES3_PfS7_fN6thrust23THRUST_200600_302600_NS4plusIfEEEE10hipError_tPvRmT1_T2_T3_mT4_P12ihipStream_tbEUlT_E0_NS1_11comp_targetILNS1_3genE10ELNS1_11target_archE1200ELNS1_3gpuE4ELNS1_3repE0EEENS1_30default_config_static_selectorELNS0_4arch9wavefront6targetE0EEEvSF_.has_dyn_sized_stack, 0
	.set _ZN7rocprim17ROCPRIM_400000_NS6detail17trampoline_kernelINS0_14default_configENS1_22reduce_config_selectorIfEEZNS1_11reduce_implILb1ES3_PfS7_fN6thrust23THRUST_200600_302600_NS4plusIfEEEE10hipError_tPvRmT1_T2_T3_mT4_P12ihipStream_tbEUlT_E0_NS1_11comp_targetILNS1_3genE10ELNS1_11target_archE1200ELNS1_3gpuE4ELNS1_3repE0EEENS1_30default_config_static_selectorELNS0_4arch9wavefront6targetE0EEEvSF_.has_recursion, 0
	.set _ZN7rocprim17ROCPRIM_400000_NS6detail17trampoline_kernelINS0_14default_configENS1_22reduce_config_selectorIfEEZNS1_11reduce_implILb1ES3_PfS7_fN6thrust23THRUST_200600_302600_NS4plusIfEEEE10hipError_tPvRmT1_T2_T3_mT4_P12ihipStream_tbEUlT_E0_NS1_11comp_targetILNS1_3genE10ELNS1_11target_archE1200ELNS1_3gpuE4ELNS1_3repE0EEENS1_30default_config_static_selectorELNS0_4arch9wavefront6targetE0EEEvSF_.has_indirect_call, 0
	.section	.AMDGPU.csdata,"",@progbits
; Kernel info:
; codeLenInByte = 0
; TotalNumSgprs: 0
; NumVgprs: 0
; ScratchSize: 0
; MemoryBound: 0
; FloatMode: 240
; IeeeMode: 1
; LDSByteSize: 0 bytes/workgroup (compile time only)
; SGPRBlocks: 0
; VGPRBlocks: 0
; NumSGPRsForWavesPerEU: 1
; NumVGPRsForWavesPerEU: 1
; NamedBarCnt: 0
; Occupancy: 16
; WaveLimiterHint : 0
; COMPUTE_PGM_RSRC2:SCRATCH_EN: 0
; COMPUTE_PGM_RSRC2:USER_SGPR: 2
; COMPUTE_PGM_RSRC2:TRAP_HANDLER: 0
; COMPUTE_PGM_RSRC2:TGID_X_EN: 1
; COMPUTE_PGM_RSRC2:TGID_Y_EN: 0
; COMPUTE_PGM_RSRC2:TGID_Z_EN: 0
; COMPUTE_PGM_RSRC2:TIDIG_COMP_CNT: 0
	.section	.text._ZN7rocprim17ROCPRIM_400000_NS6detail17trampoline_kernelINS0_14default_configENS1_22reduce_config_selectorIfEEZNS1_11reduce_implILb1ES3_PfS7_fN6thrust23THRUST_200600_302600_NS4plusIfEEEE10hipError_tPvRmT1_T2_T3_mT4_P12ihipStream_tbEUlT_E0_NS1_11comp_targetILNS1_3genE9ELNS1_11target_archE1100ELNS1_3gpuE3ELNS1_3repE0EEENS1_30default_config_static_selectorELNS0_4arch9wavefront6targetE0EEEvSF_,"axG",@progbits,_ZN7rocprim17ROCPRIM_400000_NS6detail17trampoline_kernelINS0_14default_configENS1_22reduce_config_selectorIfEEZNS1_11reduce_implILb1ES3_PfS7_fN6thrust23THRUST_200600_302600_NS4plusIfEEEE10hipError_tPvRmT1_T2_T3_mT4_P12ihipStream_tbEUlT_E0_NS1_11comp_targetILNS1_3genE9ELNS1_11target_archE1100ELNS1_3gpuE3ELNS1_3repE0EEENS1_30default_config_static_selectorELNS0_4arch9wavefront6targetE0EEEvSF_,comdat
	.protected	_ZN7rocprim17ROCPRIM_400000_NS6detail17trampoline_kernelINS0_14default_configENS1_22reduce_config_selectorIfEEZNS1_11reduce_implILb1ES3_PfS7_fN6thrust23THRUST_200600_302600_NS4plusIfEEEE10hipError_tPvRmT1_T2_T3_mT4_P12ihipStream_tbEUlT_E0_NS1_11comp_targetILNS1_3genE9ELNS1_11target_archE1100ELNS1_3gpuE3ELNS1_3repE0EEENS1_30default_config_static_selectorELNS0_4arch9wavefront6targetE0EEEvSF_ ; -- Begin function _ZN7rocprim17ROCPRIM_400000_NS6detail17trampoline_kernelINS0_14default_configENS1_22reduce_config_selectorIfEEZNS1_11reduce_implILb1ES3_PfS7_fN6thrust23THRUST_200600_302600_NS4plusIfEEEE10hipError_tPvRmT1_T2_T3_mT4_P12ihipStream_tbEUlT_E0_NS1_11comp_targetILNS1_3genE9ELNS1_11target_archE1100ELNS1_3gpuE3ELNS1_3repE0EEENS1_30default_config_static_selectorELNS0_4arch9wavefront6targetE0EEEvSF_
	.globl	_ZN7rocprim17ROCPRIM_400000_NS6detail17trampoline_kernelINS0_14default_configENS1_22reduce_config_selectorIfEEZNS1_11reduce_implILb1ES3_PfS7_fN6thrust23THRUST_200600_302600_NS4plusIfEEEE10hipError_tPvRmT1_T2_T3_mT4_P12ihipStream_tbEUlT_E0_NS1_11comp_targetILNS1_3genE9ELNS1_11target_archE1100ELNS1_3gpuE3ELNS1_3repE0EEENS1_30default_config_static_selectorELNS0_4arch9wavefront6targetE0EEEvSF_
	.p2align	8
	.type	_ZN7rocprim17ROCPRIM_400000_NS6detail17trampoline_kernelINS0_14default_configENS1_22reduce_config_selectorIfEEZNS1_11reduce_implILb1ES3_PfS7_fN6thrust23THRUST_200600_302600_NS4plusIfEEEE10hipError_tPvRmT1_T2_T3_mT4_P12ihipStream_tbEUlT_E0_NS1_11comp_targetILNS1_3genE9ELNS1_11target_archE1100ELNS1_3gpuE3ELNS1_3repE0EEENS1_30default_config_static_selectorELNS0_4arch9wavefront6targetE0EEEvSF_,@function
_ZN7rocprim17ROCPRIM_400000_NS6detail17trampoline_kernelINS0_14default_configENS1_22reduce_config_selectorIfEEZNS1_11reduce_implILb1ES3_PfS7_fN6thrust23THRUST_200600_302600_NS4plusIfEEEE10hipError_tPvRmT1_T2_T3_mT4_P12ihipStream_tbEUlT_E0_NS1_11comp_targetILNS1_3genE9ELNS1_11target_archE1100ELNS1_3gpuE3ELNS1_3repE0EEENS1_30default_config_static_selectorELNS0_4arch9wavefront6targetE0EEEvSF_: ; @_ZN7rocprim17ROCPRIM_400000_NS6detail17trampoline_kernelINS0_14default_configENS1_22reduce_config_selectorIfEEZNS1_11reduce_implILb1ES3_PfS7_fN6thrust23THRUST_200600_302600_NS4plusIfEEEE10hipError_tPvRmT1_T2_T3_mT4_P12ihipStream_tbEUlT_E0_NS1_11comp_targetILNS1_3genE9ELNS1_11target_archE1100ELNS1_3gpuE3ELNS1_3repE0EEENS1_30default_config_static_selectorELNS0_4arch9wavefront6targetE0EEEvSF_
; %bb.0:
	.section	.rodata,"a",@progbits
	.p2align	6, 0x0
	.amdhsa_kernel _ZN7rocprim17ROCPRIM_400000_NS6detail17trampoline_kernelINS0_14default_configENS1_22reduce_config_selectorIfEEZNS1_11reduce_implILb1ES3_PfS7_fN6thrust23THRUST_200600_302600_NS4plusIfEEEE10hipError_tPvRmT1_T2_T3_mT4_P12ihipStream_tbEUlT_E0_NS1_11comp_targetILNS1_3genE9ELNS1_11target_archE1100ELNS1_3gpuE3ELNS1_3repE0EEENS1_30default_config_static_selectorELNS0_4arch9wavefront6targetE0EEEvSF_
		.amdhsa_group_segment_fixed_size 0
		.amdhsa_private_segment_fixed_size 0
		.amdhsa_kernarg_size 56
		.amdhsa_user_sgpr_count 2
		.amdhsa_user_sgpr_dispatch_ptr 0
		.amdhsa_user_sgpr_queue_ptr 0
		.amdhsa_user_sgpr_kernarg_segment_ptr 1
		.amdhsa_user_sgpr_dispatch_id 0
		.amdhsa_user_sgpr_kernarg_preload_length 0
		.amdhsa_user_sgpr_kernarg_preload_offset 0
		.amdhsa_user_sgpr_private_segment_size 0
		.amdhsa_wavefront_size32 1
		.amdhsa_uses_dynamic_stack 0
		.amdhsa_enable_private_segment 0
		.amdhsa_system_sgpr_workgroup_id_x 1
		.amdhsa_system_sgpr_workgroup_id_y 0
		.amdhsa_system_sgpr_workgroup_id_z 0
		.amdhsa_system_sgpr_workgroup_info 0
		.amdhsa_system_vgpr_workitem_id 0
		.amdhsa_next_free_vgpr 1
		.amdhsa_next_free_sgpr 1
		.amdhsa_named_barrier_count 0
		.amdhsa_reserve_vcc 0
		.amdhsa_float_round_mode_32 0
		.amdhsa_float_round_mode_16_64 0
		.amdhsa_float_denorm_mode_32 3
		.amdhsa_float_denorm_mode_16_64 3
		.amdhsa_fp16_overflow 0
		.amdhsa_memory_ordered 1
		.amdhsa_forward_progress 1
		.amdhsa_inst_pref_size 0
		.amdhsa_round_robin_scheduling 0
		.amdhsa_exception_fp_ieee_invalid_op 0
		.amdhsa_exception_fp_denorm_src 0
		.amdhsa_exception_fp_ieee_div_zero 0
		.amdhsa_exception_fp_ieee_overflow 0
		.amdhsa_exception_fp_ieee_underflow 0
		.amdhsa_exception_fp_ieee_inexact 0
		.amdhsa_exception_int_div_zero 0
	.end_amdhsa_kernel
	.section	.text._ZN7rocprim17ROCPRIM_400000_NS6detail17trampoline_kernelINS0_14default_configENS1_22reduce_config_selectorIfEEZNS1_11reduce_implILb1ES3_PfS7_fN6thrust23THRUST_200600_302600_NS4plusIfEEEE10hipError_tPvRmT1_T2_T3_mT4_P12ihipStream_tbEUlT_E0_NS1_11comp_targetILNS1_3genE9ELNS1_11target_archE1100ELNS1_3gpuE3ELNS1_3repE0EEENS1_30default_config_static_selectorELNS0_4arch9wavefront6targetE0EEEvSF_,"axG",@progbits,_ZN7rocprim17ROCPRIM_400000_NS6detail17trampoline_kernelINS0_14default_configENS1_22reduce_config_selectorIfEEZNS1_11reduce_implILb1ES3_PfS7_fN6thrust23THRUST_200600_302600_NS4plusIfEEEE10hipError_tPvRmT1_T2_T3_mT4_P12ihipStream_tbEUlT_E0_NS1_11comp_targetILNS1_3genE9ELNS1_11target_archE1100ELNS1_3gpuE3ELNS1_3repE0EEENS1_30default_config_static_selectorELNS0_4arch9wavefront6targetE0EEEvSF_,comdat
.Lfunc_end7:
	.size	_ZN7rocprim17ROCPRIM_400000_NS6detail17trampoline_kernelINS0_14default_configENS1_22reduce_config_selectorIfEEZNS1_11reduce_implILb1ES3_PfS7_fN6thrust23THRUST_200600_302600_NS4plusIfEEEE10hipError_tPvRmT1_T2_T3_mT4_P12ihipStream_tbEUlT_E0_NS1_11comp_targetILNS1_3genE9ELNS1_11target_archE1100ELNS1_3gpuE3ELNS1_3repE0EEENS1_30default_config_static_selectorELNS0_4arch9wavefront6targetE0EEEvSF_, .Lfunc_end7-_ZN7rocprim17ROCPRIM_400000_NS6detail17trampoline_kernelINS0_14default_configENS1_22reduce_config_selectorIfEEZNS1_11reduce_implILb1ES3_PfS7_fN6thrust23THRUST_200600_302600_NS4plusIfEEEE10hipError_tPvRmT1_T2_T3_mT4_P12ihipStream_tbEUlT_E0_NS1_11comp_targetILNS1_3genE9ELNS1_11target_archE1100ELNS1_3gpuE3ELNS1_3repE0EEENS1_30default_config_static_selectorELNS0_4arch9wavefront6targetE0EEEvSF_
                                        ; -- End function
	.set _ZN7rocprim17ROCPRIM_400000_NS6detail17trampoline_kernelINS0_14default_configENS1_22reduce_config_selectorIfEEZNS1_11reduce_implILb1ES3_PfS7_fN6thrust23THRUST_200600_302600_NS4plusIfEEEE10hipError_tPvRmT1_T2_T3_mT4_P12ihipStream_tbEUlT_E0_NS1_11comp_targetILNS1_3genE9ELNS1_11target_archE1100ELNS1_3gpuE3ELNS1_3repE0EEENS1_30default_config_static_selectorELNS0_4arch9wavefront6targetE0EEEvSF_.num_vgpr, 0
	.set _ZN7rocprim17ROCPRIM_400000_NS6detail17trampoline_kernelINS0_14default_configENS1_22reduce_config_selectorIfEEZNS1_11reduce_implILb1ES3_PfS7_fN6thrust23THRUST_200600_302600_NS4plusIfEEEE10hipError_tPvRmT1_T2_T3_mT4_P12ihipStream_tbEUlT_E0_NS1_11comp_targetILNS1_3genE9ELNS1_11target_archE1100ELNS1_3gpuE3ELNS1_3repE0EEENS1_30default_config_static_selectorELNS0_4arch9wavefront6targetE0EEEvSF_.num_agpr, 0
	.set _ZN7rocprim17ROCPRIM_400000_NS6detail17trampoline_kernelINS0_14default_configENS1_22reduce_config_selectorIfEEZNS1_11reduce_implILb1ES3_PfS7_fN6thrust23THRUST_200600_302600_NS4plusIfEEEE10hipError_tPvRmT1_T2_T3_mT4_P12ihipStream_tbEUlT_E0_NS1_11comp_targetILNS1_3genE9ELNS1_11target_archE1100ELNS1_3gpuE3ELNS1_3repE0EEENS1_30default_config_static_selectorELNS0_4arch9wavefront6targetE0EEEvSF_.numbered_sgpr, 0
	.set _ZN7rocprim17ROCPRIM_400000_NS6detail17trampoline_kernelINS0_14default_configENS1_22reduce_config_selectorIfEEZNS1_11reduce_implILb1ES3_PfS7_fN6thrust23THRUST_200600_302600_NS4plusIfEEEE10hipError_tPvRmT1_T2_T3_mT4_P12ihipStream_tbEUlT_E0_NS1_11comp_targetILNS1_3genE9ELNS1_11target_archE1100ELNS1_3gpuE3ELNS1_3repE0EEENS1_30default_config_static_selectorELNS0_4arch9wavefront6targetE0EEEvSF_.num_named_barrier, 0
	.set _ZN7rocprim17ROCPRIM_400000_NS6detail17trampoline_kernelINS0_14default_configENS1_22reduce_config_selectorIfEEZNS1_11reduce_implILb1ES3_PfS7_fN6thrust23THRUST_200600_302600_NS4plusIfEEEE10hipError_tPvRmT1_T2_T3_mT4_P12ihipStream_tbEUlT_E0_NS1_11comp_targetILNS1_3genE9ELNS1_11target_archE1100ELNS1_3gpuE3ELNS1_3repE0EEENS1_30default_config_static_selectorELNS0_4arch9wavefront6targetE0EEEvSF_.private_seg_size, 0
	.set _ZN7rocprim17ROCPRIM_400000_NS6detail17trampoline_kernelINS0_14default_configENS1_22reduce_config_selectorIfEEZNS1_11reduce_implILb1ES3_PfS7_fN6thrust23THRUST_200600_302600_NS4plusIfEEEE10hipError_tPvRmT1_T2_T3_mT4_P12ihipStream_tbEUlT_E0_NS1_11comp_targetILNS1_3genE9ELNS1_11target_archE1100ELNS1_3gpuE3ELNS1_3repE0EEENS1_30default_config_static_selectorELNS0_4arch9wavefront6targetE0EEEvSF_.uses_vcc, 0
	.set _ZN7rocprim17ROCPRIM_400000_NS6detail17trampoline_kernelINS0_14default_configENS1_22reduce_config_selectorIfEEZNS1_11reduce_implILb1ES3_PfS7_fN6thrust23THRUST_200600_302600_NS4plusIfEEEE10hipError_tPvRmT1_T2_T3_mT4_P12ihipStream_tbEUlT_E0_NS1_11comp_targetILNS1_3genE9ELNS1_11target_archE1100ELNS1_3gpuE3ELNS1_3repE0EEENS1_30default_config_static_selectorELNS0_4arch9wavefront6targetE0EEEvSF_.uses_flat_scratch, 0
	.set _ZN7rocprim17ROCPRIM_400000_NS6detail17trampoline_kernelINS0_14default_configENS1_22reduce_config_selectorIfEEZNS1_11reduce_implILb1ES3_PfS7_fN6thrust23THRUST_200600_302600_NS4plusIfEEEE10hipError_tPvRmT1_T2_T3_mT4_P12ihipStream_tbEUlT_E0_NS1_11comp_targetILNS1_3genE9ELNS1_11target_archE1100ELNS1_3gpuE3ELNS1_3repE0EEENS1_30default_config_static_selectorELNS0_4arch9wavefront6targetE0EEEvSF_.has_dyn_sized_stack, 0
	.set _ZN7rocprim17ROCPRIM_400000_NS6detail17trampoline_kernelINS0_14default_configENS1_22reduce_config_selectorIfEEZNS1_11reduce_implILb1ES3_PfS7_fN6thrust23THRUST_200600_302600_NS4plusIfEEEE10hipError_tPvRmT1_T2_T3_mT4_P12ihipStream_tbEUlT_E0_NS1_11comp_targetILNS1_3genE9ELNS1_11target_archE1100ELNS1_3gpuE3ELNS1_3repE0EEENS1_30default_config_static_selectorELNS0_4arch9wavefront6targetE0EEEvSF_.has_recursion, 0
	.set _ZN7rocprim17ROCPRIM_400000_NS6detail17trampoline_kernelINS0_14default_configENS1_22reduce_config_selectorIfEEZNS1_11reduce_implILb1ES3_PfS7_fN6thrust23THRUST_200600_302600_NS4plusIfEEEE10hipError_tPvRmT1_T2_T3_mT4_P12ihipStream_tbEUlT_E0_NS1_11comp_targetILNS1_3genE9ELNS1_11target_archE1100ELNS1_3gpuE3ELNS1_3repE0EEENS1_30default_config_static_selectorELNS0_4arch9wavefront6targetE0EEEvSF_.has_indirect_call, 0
	.section	.AMDGPU.csdata,"",@progbits
; Kernel info:
; codeLenInByte = 0
; TotalNumSgprs: 0
; NumVgprs: 0
; ScratchSize: 0
; MemoryBound: 0
; FloatMode: 240
; IeeeMode: 1
; LDSByteSize: 0 bytes/workgroup (compile time only)
; SGPRBlocks: 0
; VGPRBlocks: 0
; NumSGPRsForWavesPerEU: 1
; NumVGPRsForWavesPerEU: 1
; NamedBarCnt: 0
; Occupancy: 16
; WaveLimiterHint : 0
; COMPUTE_PGM_RSRC2:SCRATCH_EN: 0
; COMPUTE_PGM_RSRC2:USER_SGPR: 2
; COMPUTE_PGM_RSRC2:TRAP_HANDLER: 0
; COMPUTE_PGM_RSRC2:TGID_X_EN: 1
; COMPUTE_PGM_RSRC2:TGID_Y_EN: 0
; COMPUTE_PGM_RSRC2:TGID_Z_EN: 0
; COMPUTE_PGM_RSRC2:TIDIG_COMP_CNT: 0
	.section	.text._ZN7rocprim17ROCPRIM_400000_NS6detail17trampoline_kernelINS0_14default_configENS1_22reduce_config_selectorIfEEZNS1_11reduce_implILb1ES3_PfS7_fN6thrust23THRUST_200600_302600_NS4plusIfEEEE10hipError_tPvRmT1_T2_T3_mT4_P12ihipStream_tbEUlT_E0_NS1_11comp_targetILNS1_3genE8ELNS1_11target_archE1030ELNS1_3gpuE2ELNS1_3repE0EEENS1_30default_config_static_selectorELNS0_4arch9wavefront6targetE0EEEvSF_,"axG",@progbits,_ZN7rocprim17ROCPRIM_400000_NS6detail17trampoline_kernelINS0_14default_configENS1_22reduce_config_selectorIfEEZNS1_11reduce_implILb1ES3_PfS7_fN6thrust23THRUST_200600_302600_NS4plusIfEEEE10hipError_tPvRmT1_T2_T3_mT4_P12ihipStream_tbEUlT_E0_NS1_11comp_targetILNS1_3genE8ELNS1_11target_archE1030ELNS1_3gpuE2ELNS1_3repE0EEENS1_30default_config_static_selectorELNS0_4arch9wavefront6targetE0EEEvSF_,comdat
	.protected	_ZN7rocprim17ROCPRIM_400000_NS6detail17trampoline_kernelINS0_14default_configENS1_22reduce_config_selectorIfEEZNS1_11reduce_implILb1ES3_PfS7_fN6thrust23THRUST_200600_302600_NS4plusIfEEEE10hipError_tPvRmT1_T2_T3_mT4_P12ihipStream_tbEUlT_E0_NS1_11comp_targetILNS1_3genE8ELNS1_11target_archE1030ELNS1_3gpuE2ELNS1_3repE0EEENS1_30default_config_static_selectorELNS0_4arch9wavefront6targetE0EEEvSF_ ; -- Begin function _ZN7rocprim17ROCPRIM_400000_NS6detail17trampoline_kernelINS0_14default_configENS1_22reduce_config_selectorIfEEZNS1_11reduce_implILb1ES3_PfS7_fN6thrust23THRUST_200600_302600_NS4plusIfEEEE10hipError_tPvRmT1_T2_T3_mT4_P12ihipStream_tbEUlT_E0_NS1_11comp_targetILNS1_3genE8ELNS1_11target_archE1030ELNS1_3gpuE2ELNS1_3repE0EEENS1_30default_config_static_selectorELNS0_4arch9wavefront6targetE0EEEvSF_
	.globl	_ZN7rocprim17ROCPRIM_400000_NS6detail17trampoline_kernelINS0_14default_configENS1_22reduce_config_selectorIfEEZNS1_11reduce_implILb1ES3_PfS7_fN6thrust23THRUST_200600_302600_NS4plusIfEEEE10hipError_tPvRmT1_T2_T3_mT4_P12ihipStream_tbEUlT_E0_NS1_11comp_targetILNS1_3genE8ELNS1_11target_archE1030ELNS1_3gpuE2ELNS1_3repE0EEENS1_30default_config_static_selectorELNS0_4arch9wavefront6targetE0EEEvSF_
	.p2align	8
	.type	_ZN7rocprim17ROCPRIM_400000_NS6detail17trampoline_kernelINS0_14default_configENS1_22reduce_config_selectorIfEEZNS1_11reduce_implILb1ES3_PfS7_fN6thrust23THRUST_200600_302600_NS4plusIfEEEE10hipError_tPvRmT1_T2_T3_mT4_P12ihipStream_tbEUlT_E0_NS1_11comp_targetILNS1_3genE8ELNS1_11target_archE1030ELNS1_3gpuE2ELNS1_3repE0EEENS1_30default_config_static_selectorELNS0_4arch9wavefront6targetE0EEEvSF_,@function
_ZN7rocprim17ROCPRIM_400000_NS6detail17trampoline_kernelINS0_14default_configENS1_22reduce_config_selectorIfEEZNS1_11reduce_implILb1ES3_PfS7_fN6thrust23THRUST_200600_302600_NS4plusIfEEEE10hipError_tPvRmT1_T2_T3_mT4_P12ihipStream_tbEUlT_E0_NS1_11comp_targetILNS1_3genE8ELNS1_11target_archE1030ELNS1_3gpuE2ELNS1_3repE0EEENS1_30default_config_static_selectorELNS0_4arch9wavefront6targetE0EEEvSF_: ; @_ZN7rocprim17ROCPRIM_400000_NS6detail17trampoline_kernelINS0_14default_configENS1_22reduce_config_selectorIfEEZNS1_11reduce_implILb1ES3_PfS7_fN6thrust23THRUST_200600_302600_NS4plusIfEEEE10hipError_tPvRmT1_T2_T3_mT4_P12ihipStream_tbEUlT_E0_NS1_11comp_targetILNS1_3genE8ELNS1_11target_archE1030ELNS1_3gpuE2ELNS1_3repE0EEENS1_30default_config_static_selectorELNS0_4arch9wavefront6targetE0EEEvSF_
; %bb.0:
	.section	.rodata,"a",@progbits
	.p2align	6, 0x0
	.amdhsa_kernel _ZN7rocprim17ROCPRIM_400000_NS6detail17trampoline_kernelINS0_14default_configENS1_22reduce_config_selectorIfEEZNS1_11reduce_implILb1ES3_PfS7_fN6thrust23THRUST_200600_302600_NS4plusIfEEEE10hipError_tPvRmT1_T2_T3_mT4_P12ihipStream_tbEUlT_E0_NS1_11comp_targetILNS1_3genE8ELNS1_11target_archE1030ELNS1_3gpuE2ELNS1_3repE0EEENS1_30default_config_static_selectorELNS0_4arch9wavefront6targetE0EEEvSF_
		.amdhsa_group_segment_fixed_size 0
		.amdhsa_private_segment_fixed_size 0
		.amdhsa_kernarg_size 56
		.amdhsa_user_sgpr_count 2
		.amdhsa_user_sgpr_dispatch_ptr 0
		.amdhsa_user_sgpr_queue_ptr 0
		.amdhsa_user_sgpr_kernarg_segment_ptr 1
		.amdhsa_user_sgpr_dispatch_id 0
		.amdhsa_user_sgpr_kernarg_preload_length 0
		.amdhsa_user_sgpr_kernarg_preload_offset 0
		.amdhsa_user_sgpr_private_segment_size 0
		.amdhsa_wavefront_size32 1
		.amdhsa_uses_dynamic_stack 0
		.amdhsa_enable_private_segment 0
		.amdhsa_system_sgpr_workgroup_id_x 1
		.amdhsa_system_sgpr_workgroup_id_y 0
		.amdhsa_system_sgpr_workgroup_id_z 0
		.amdhsa_system_sgpr_workgroup_info 0
		.amdhsa_system_vgpr_workitem_id 0
		.amdhsa_next_free_vgpr 1
		.amdhsa_next_free_sgpr 1
		.amdhsa_named_barrier_count 0
		.amdhsa_reserve_vcc 0
		.amdhsa_float_round_mode_32 0
		.amdhsa_float_round_mode_16_64 0
		.amdhsa_float_denorm_mode_32 3
		.amdhsa_float_denorm_mode_16_64 3
		.amdhsa_fp16_overflow 0
		.amdhsa_memory_ordered 1
		.amdhsa_forward_progress 1
		.amdhsa_inst_pref_size 0
		.amdhsa_round_robin_scheduling 0
		.amdhsa_exception_fp_ieee_invalid_op 0
		.amdhsa_exception_fp_denorm_src 0
		.amdhsa_exception_fp_ieee_div_zero 0
		.amdhsa_exception_fp_ieee_overflow 0
		.amdhsa_exception_fp_ieee_underflow 0
		.amdhsa_exception_fp_ieee_inexact 0
		.amdhsa_exception_int_div_zero 0
	.end_amdhsa_kernel
	.section	.text._ZN7rocprim17ROCPRIM_400000_NS6detail17trampoline_kernelINS0_14default_configENS1_22reduce_config_selectorIfEEZNS1_11reduce_implILb1ES3_PfS7_fN6thrust23THRUST_200600_302600_NS4plusIfEEEE10hipError_tPvRmT1_T2_T3_mT4_P12ihipStream_tbEUlT_E0_NS1_11comp_targetILNS1_3genE8ELNS1_11target_archE1030ELNS1_3gpuE2ELNS1_3repE0EEENS1_30default_config_static_selectorELNS0_4arch9wavefront6targetE0EEEvSF_,"axG",@progbits,_ZN7rocprim17ROCPRIM_400000_NS6detail17trampoline_kernelINS0_14default_configENS1_22reduce_config_selectorIfEEZNS1_11reduce_implILb1ES3_PfS7_fN6thrust23THRUST_200600_302600_NS4plusIfEEEE10hipError_tPvRmT1_T2_T3_mT4_P12ihipStream_tbEUlT_E0_NS1_11comp_targetILNS1_3genE8ELNS1_11target_archE1030ELNS1_3gpuE2ELNS1_3repE0EEENS1_30default_config_static_selectorELNS0_4arch9wavefront6targetE0EEEvSF_,comdat
.Lfunc_end8:
	.size	_ZN7rocprim17ROCPRIM_400000_NS6detail17trampoline_kernelINS0_14default_configENS1_22reduce_config_selectorIfEEZNS1_11reduce_implILb1ES3_PfS7_fN6thrust23THRUST_200600_302600_NS4plusIfEEEE10hipError_tPvRmT1_T2_T3_mT4_P12ihipStream_tbEUlT_E0_NS1_11comp_targetILNS1_3genE8ELNS1_11target_archE1030ELNS1_3gpuE2ELNS1_3repE0EEENS1_30default_config_static_selectorELNS0_4arch9wavefront6targetE0EEEvSF_, .Lfunc_end8-_ZN7rocprim17ROCPRIM_400000_NS6detail17trampoline_kernelINS0_14default_configENS1_22reduce_config_selectorIfEEZNS1_11reduce_implILb1ES3_PfS7_fN6thrust23THRUST_200600_302600_NS4plusIfEEEE10hipError_tPvRmT1_T2_T3_mT4_P12ihipStream_tbEUlT_E0_NS1_11comp_targetILNS1_3genE8ELNS1_11target_archE1030ELNS1_3gpuE2ELNS1_3repE0EEENS1_30default_config_static_selectorELNS0_4arch9wavefront6targetE0EEEvSF_
                                        ; -- End function
	.set _ZN7rocprim17ROCPRIM_400000_NS6detail17trampoline_kernelINS0_14default_configENS1_22reduce_config_selectorIfEEZNS1_11reduce_implILb1ES3_PfS7_fN6thrust23THRUST_200600_302600_NS4plusIfEEEE10hipError_tPvRmT1_T2_T3_mT4_P12ihipStream_tbEUlT_E0_NS1_11comp_targetILNS1_3genE8ELNS1_11target_archE1030ELNS1_3gpuE2ELNS1_3repE0EEENS1_30default_config_static_selectorELNS0_4arch9wavefront6targetE0EEEvSF_.num_vgpr, 0
	.set _ZN7rocprim17ROCPRIM_400000_NS6detail17trampoline_kernelINS0_14default_configENS1_22reduce_config_selectorIfEEZNS1_11reduce_implILb1ES3_PfS7_fN6thrust23THRUST_200600_302600_NS4plusIfEEEE10hipError_tPvRmT1_T2_T3_mT4_P12ihipStream_tbEUlT_E0_NS1_11comp_targetILNS1_3genE8ELNS1_11target_archE1030ELNS1_3gpuE2ELNS1_3repE0EEENS1_30default_config_static_selectorELNS0_4arch9wavefront6targetE0EEEvSF_.num_agpr, 0
	.set _ZN7rocprim17ROCPRIM_400000_NS6detail17trampoline_kernelINS0_14default_configENS1_22reduce_config_selectorIfEEZNS1_11reduce_implILb1ES3_PfS7_fN6thrust23THRUST_200600_302600_NS4plusIfEEEE10hipError_tPvRmT1_T2_T3_mT4_P12ihipStream_tbEUlT_E0_NS1_11comp_targetILNS1_3genE8ELNS1_11target_archE1030ELNS1_3gpuE2ELNS1_3repE0EEENS1_30default_config_static_selectorELNS0_4arch9wavefront6targetE0EEEvSF_.numbered_sgpr, 0
	.set _ZN7rocprim17ROCPRIM_400000_NS6detail17trampoline_kernelINS0_14default_configENS1_22reduce_config_selectorIfEEZNS1_11reduce_implILb1ES3_PfS7_fN6thrust23THRUST_200600_302600_NS4plusIfEEEE10hipError_tPvRmT1_T2_T3_mT4_P12ihipStream_tbEUlT_E0_NS1_11comp_targetILNS1_3genE8ELNS1_11target_archE1030ELNS1_3gpuE2ELNS1_3repE0EEENS1_30default_config_static_selectorELNS0_4arch9wavefront6targetE0EEEvSF_.num_named_barrier, 0
	.set _ZN7rocprim17ROCPRIM_400000_NS6detail17trampoline_kernelINS0_14default_configENS1_22reduce_config_selectorIfEEZNS1_11reduce_implILb1ES3_PfS7_fN6thrust23THRUST_200600_302600_NS4plusIfEEEE10hipError_tPvRmT1_T2_T3_mT4_P12ihipStream_tbEUlT_E0_NS1_11comp_targetILNS1_3genE8ELNS1_11target_archE1030ELNS1_3gpuE2ELNS1_3repE0EEENS1_30default_config_static_selectorELNS0_4arch9wavefront6targetE0EEEvSF_.private_seg_size, 0
	.set _ZN7rocprim17ROCPRIM_400000_NS6detail17trampoline_kernelINS0_14default_configENS1_22reduce_config_selectorIfEEZNS1_11reduce_implILb1ES3_PfS7_fN6thrust23THRUST_200600_302600_NS4plusIfEEEE10hipError_tPvRmT1_T2_T3_mT4_P12ihipStream_tbEUlT_E0_NS1_11comp_targetILNS1_3genE8ELNS1_11target_archE1030ELNS1_3gpuE2ELNS1_3repE0EEENS1_30default_config_static_selectorELNS0_4arch9wavefront6targetE0EEEvSF_.uses_vcc, 0
	.set _ZN7rocprim17ROCPRIM_400000_NS6detail17trampoline_kernelINS0_14default_configENS1_22reduce_config_selectorIfEEZNS1_11reduce_implILb1ES3_PfS7_fN6thrust23THRUST_200600_302600_NS4plusIfEEEE10hipError_tPvRmT1_T2_T3_mT4_P12ihipStream_tbEUlT_E0_NS1_11comp_targetILNS1_3genE8ELNS1_11target_archE1030ELNS1_3gpuE2ELNS1_3repE0EEENS1_30default_config_static_selectorELNS0_4arch9wavefront6targetE0EEEvSF_.uses_flat_scratch, 0
	.set _ZN7rocprim17ROCPRIM_400000_NS6detail17trampoline_kernelINS0_14default_configENS1_22reduce_config_selectorIfEEZNS1_11reduce_implILb1ES3_PfS7_fN6thrust23THRUST_200600_302600_NS4plusIfEEEE10hipError_tPvRmT1_T2_T3_mT4_P12ihipStream_tbEUlT_E0_NS1_11comp_targetILNS1_3genE8ELNS1_11target_archE1030ELNS1_3gpuE2ELNS1_3repE0EEENS1_30default_config_static_selectorELNS0_4arch9wavefront6targetE0EEEvSF_.has_dyn_sized_stack, 0
	.set _ZN7rocprim17ROCPRIM_400000_NS6detail17trampoline_kernelINS0_14default_configENS1_22reduce_config_selectorIfEEZNS1_11reduce_implILb1ES3_PfS7_fN6thrust23THRUST_200600_302600_NS4plusIfEEEE10hipError_tPvRmT1_T2_T3_mT4_P12ihipStream_tbEUlT_E0_NS1_11comp_targetILNS1_3genE8ELNS1_11target_archE1030ELNS1_3gpuE2ELNS1_3repE0EEENS1_30default_config_static_selectorELNS0_4arch9wavefront6targetE0EEEvSF_.has_recursion, 0
	.set _ZN7rocprim17ROCPRIM_400000_NS6detail17trampoline_kernelINS0_14default_configENS1_22reduce_config_selectorIfEEZNS1_11reduce_implILb1ES3_PfS7_fN6thrust23THRUST_200600_302600_NS4plusIfEEEE10hipError_tPvRmT1_T2_T3_mT4_P12ihipStream_tbEUlT_E0_NS1_11comp_targetILNS1_3genE8ELNS1_11target_archE1030ELNS1_3gpuE2ELNS1_3repE0EEENS1_30default_config_static_selectorELNS0_4arch9wavefront6targetE0EEEvSF_.has_indirect_call, 0
	.section	.AMDGPU.csdata,"",@progbits
; Kernel info:
; codeLenInByte = 0
; TotalNumSgprs: 0
; NumVgprs: 0
; ScratchSize: 0
; MemoryBound: 0
; FloatMode: 240
; IeeeMode: 1
; LDSByteSize: 0 bytes/workgroup (compile time only)
; SGPRBlocks: 0
; VGPRBlocks: 0
; NumSGPRsForWavesPerEU: 1
; NumVGPRsForWavesPerEU: 1
; NamedBarCnt: 0
; Occupancy: 16
; WaveLimiterHint : 0
; COMPUTE_PGM_RSRC2:SCRATCH_EN: 0
; COMPUTE_PGM_RSRC2:USER_SGPR: 2
; COMPUTE_PGM_RSRC2:TRAP_HANDLER: 0
; COMPUTE_PGM_RSRC2:TGID_X_EN: 1
; COMPUTE_PGM_RSRC2:TGID_Y_EN: 0
; COMPUTE_PGM_RSRC2:TGID_Z_EN: 0
; COMPUTE_PGM_RSRC2:TIDIG_COMP_CNT: 0
	.section	.text._ZN7rocprim17ROCPRIM_400000_NS6detail17trampoline_kernelINS0_14default_configENS1_22reduce_config_selectorIfEEZNS1_11reduce_implILb1ES3_PfS7_fN6thrust23THRUST_200600_302600_NS4plusIfEEEE10hipError_tPvRmT1_T2_T3_mT4_P12ihipStream_tbEUlT_E1_NS1_11comp_targetILNS1_3genE0ELNS1_11target_archE4294967295ELNS1_3gpuE0ELNS1_3repE0EEENS1_30default_config_static_selectorELNS0_4arch9wavefront6targetE0EEEvSF_,"axG",@progbits,_ZN7rocprim17ROCPRIM_400000_NS6detail17trampoline_kernelINS0_14default_configENS1_22reduce_config_selectorIfEEZNS1_11reduce_implILb1ES3_PfS7_fN6thrust23THRUST_200600_302600_NS4plusIfEEEE10hipError_tPvRmT1_T2_T3_mT4_P12ihipStream_tbEUlT_E1_NS1_11comp_targetILNS1_3genE0ELNS1_11target_archE4294967295ELNS1_3gpuE0ELNS1_3repE0EEENS1_30default_config_static_selectorELNS0_4arch9wavefront6targetE0EEEvSF_,comdat
	.protected	_ZN7rocprim17ROCPRIM_400000_NS6detail17trampoline_kernelINS0_14default_configENS1_22reduce_config_selectorIfEEZNS1_11reduce_implILb1ES3_PfS7_fN6thrust23THRUST_200600_302600_NS4plusIfEEEE10hipError_tPvRmT1_T2_T3_mT4_P12ihipStream_tbEUlT_E1_NS1_11comp_targetILNS1_3genE0ELNS1_11target_archE4294967295ELNS1_3gpuE0ELNS1_3repE0EEENS1_30default_config_static_selectorELNS0_4arch9wavefront6targetE0EEEvSF_ ; -- Begin function _ZN7rocprim17ROCPRIM_400000_NS6detail17trampoline_kernelINS0_14default_configENS1_22reduce_config_selectorIfEEZNS1_11reduce_implILb1ES3_PfS7_fN6thrust23THRUST_200600_302600_NS4plusIfEEEE10hipError_tPvRmT1_T2_T3_mT4_P12ihipStream_tbEUlT_E1_NS1_11comp_targetILNS1_3genE0ELNS1_11target_archE4294967295ELNS1_3gpuE0ELNS1_3repE0EEENS1_30default_config_static_selectorELNS0_4arch9wavefront6targetE0EEEvSF_
	.globl	_ZN7rocprim17ROCPRIM_400000_NS6detail17trampoline_kernelINS0_14default_configENS1_22reduce_config_selectorIfEEZNS1_11reduce_implILb1ES3_PfS7_fN6thrust23THRUST_200600_302600_NS4plusIfEEEE10hipError_tPvRmT1_T2_T3_mT4_P12ihipStream_tbEUlT_E1_NS1_11comp_targetILNS1_3genE0ELNS1_11target_archE4294967295ELNS1_3gpuE0ELNS1_3repE0EEENS1_30default_config_static_selectorELNS0_4arch9wavefront6targetE0EEEvSF_
	.p2align	8
	.type	_ZN7rocprim17ROCPRIM_400000_NS6detail17trampoline_kernelINS0_14default_configENS1_22reduce_config_selectorIfEEZNS1_11reduce_implILb1ES3_PfS7_fN6thrust23THRUST_200600_302600_NS4plusIfEEEE10hipError_tPvRmT1_T2_T3_mT4_P12ihipStream_tbEUlT_E1_NS1_11comp_targetILNS1_3genE0ELNS1_11target_archE4294967295ELNS1_3gpuE0ELNS1_3repE0EEENS1_30default_config_static_selectorELNS0_4arch9wavefront6targetE0EEEvSF_,@function
_ZN7rocprim17ROCPRIM_400000_NS6detail17trampoline_kernelINS0_14default_configENS1_22reduce_config_selectorIfEEZNS1_11reduce_implILb1ES3_PfS7_fN6thrust23THRUST_200600_302600_NS4plusIfEEEE10hipError_tPvRmT1_T2_T3_mT4_P12ihipStream_tbEUlT_E1_NS1_11comp_targetILNS1_3genE0ELNS1_11target_archE4294967295ELNS1_3gpuE0ELNS1_3repE0EEENS1_30default_config_static_selectorELNS0_4arch9wavefront6targetE0EEEvSF_: ; @_ZN7rocprim17ROCPRIM_400000_NS6detail17trampoline_kernelINS0_14default_configENS1_22reduce_config_selectorIfEEZNS1_11reduce_implILb1ES3_PfS7_fN6thrust23THRUST_200600_302600_NS4plusIfEEEE10hipError_tPvRmT1_T2_T3_mT4_P12ihipStream_tbEUlT_E1_NS1_11comp_targetILNS1_3genE0ELNS1_11target_archE4294967295ELNS1_3gpuE0ELNS1_3repE0EEENS1_30default_config_static_selectorELNS0_4arch9wavefront6targetE0EEEvSF_
; %bb.0:
	s_clause 0x1
	s_load_b32 s33, s[0:1], 0x4
	s_load_b128 s[36:39], s[0:1], 0x8
	s_wait_kmcnt 0x0
	s_cmp_lt_i32 s33, 8
	s_cbranch_scc1 .LBB9_11
; %bb.1:
	s_cmp_gt_i32 s33, 15
	s_cbranch_scc0 .LBB9_12
; %bb.2:
	s_cmp_gt_i32 s33, 31
	s_cbranch_scc0 .LBB9_13
; %bb.3:
	s_cmp_eq_u32 s33, 32
	s_mov_b32 s42, 0
	s_cbranch_scc0 .LBB9_14
; %bb.4:
	s_bfe_u32 s2, ttmp6, 0x4000c
	s_and_b32 s3, ttmp6, 15
	s_add_co_i32 s2, s2, 1
	s_getreg_b32 s4, hwreg(HW_REG_IB_STS2, 6, 4)
	s_mul_i32 s2, ttmp9, s2
	s_mov_b32 s35, 0
	s_add_co_i32 s3, s3, s2
	s_cmp_eq_u32 s4, 0
	s_cselect_b32 s34, ttmp9, s3
	s_mov_b32 s3, s35
	s_lshl_b32 s2, s34, 13
	s_lshr_b64 s[4:5], s[38:39], 13
	s_lshl_b64 s[6:7], s[2:3], 2
	s_cmp_lg_u64 s[4:5], s[34:35]
	s_add_nc_u64 s[40:41], s[36:37], s[6:7]
	s_cbranch_scc0 .LBB9_23
; %bb.5:
	s_clause 0x1f
	global_load_b32 v1, v0, s[40:41] scale_offset
	global_load_b32 v2, v0, s[40:41] offset:1024 scale_offset
	global_load_b32 v3, v0, s[40:41] offset:2048 scale_offset
	;; [unrolled: 1-line block ×31, first 2 shown]
	s_mov_b32 s3, exec_lo
	s_wait_loadcnt 0x1e
	v_add_f32_e32 v1, v1, v2
	s_wait_loadcnt 0x1d
	s_delay_alu instid0(VALU_DEP_1) | instskip(SKIP_1) | instid1(VALU_DEP_1)
	v_add_f32_e32 v1, v1, v3
	s_wait_loadcnt 0x1c
	v_add_f32_e32 v1, v1, v4
	s_wait_loadcnt 0x1b
	s_delay_alu instid0(VALU_DEP_1) | instskip(SKIP_1) | instid1(VALU_DEP_1)
	v_add_f32_e32 v1, v1, v5
	;; [unrolled: 5-line block ×15, first 2 shown]
	s_wait_loadcnt 0x0
	v_add_f32_e32 v1, v1, v32
	s_delay_alu instid0(VALU_DEP_1) | instskip(NEXT) | instid1(VALU_DEP_1)
	v_mov_b32_dpp v2, v1 quad_perm:[1,0,3,2] row_mask:0xf bank_mask:0xf
	v_add_f32_e32 v1, v1, v2
	s_delay_alu instid0(VALU_DEP_1) | instskip(NEXT) | instid1(VALU_DEP_1)
	v_mov_b32_dpp v2, v1 quad_perm:[2,3,0,1] row_mask:0xf bank_mask:0xf
	v_add_f32_e32 v1, v1, v2
	s_delay_alu instid0(VALU_DEP_1) | instskip(NEXT) | instid1(VALU_DEP_1)
	v_mov_b32_dpp v2, v1 row_ror:4 row_mask:0xf bank_mask:0xf
	v_add_f32_e32 v1, v1, v2
	s_delay_alu instid0(VALU_DEP_1) | instskip(NEXT) | instid1(VALU_DEP_1)
	v_mov_b32_dpp v2, v1 row_ror:8 row_mask:0xf bank_mask:0xf
	v_add_f32_e32 v1, v1, v2
	ds_swizzle_b32 v2, v1 offset:swizzle(BROADCAST,32,15)
	s_wait_dscnt 0x0
	v_dual_add_f32 v1, v1, v2 :: v_dual_mov_b32 v2, 0
	ds_bpermute_b32 v1, v2, v1 offset:124
	v_mbcnt_lo_u32_b32 v2, -1, 0
	s_delay_alu instid0(VALU_DEP_1)
	v_cmpx_eq_u32_e32 0, v2
	s_cbranch_execz .LBB9_7
; %bb.6:
	v_lshrrev_b32_e32 v3, 3, v0
	s_delay_alu instid0(VALU_DEP_1)
	v_and_b32_e32 v3, 28, v3
	s_wait_dscnt 0x0
	ds_store_b32 v3, v1 offset:96
.LBB9_7:
	s_or_b32 exec_lo, exec_lo, s3
	s_delay_alu instid0(SALU_CYCLE_1)
	s_mov_b32 s3, exec_lo
	s_wait_dscnt 0x0
	s_barrier_signal -1
	s_barrier_wait -1
	v_cmpx_gt_u32_e32 32, v0
	s_cbranch_execz .LBB9_9
; %bb.8:
	v_lshl_or_b32 v1, v2, 2, 0x60
	v_and_b32_e32 v3, 7, v2
	ds_load_b32 v1, v1
	v_cmp_ne_u32_e32 vcc_lo, 7, v3
	v_add_co_ci_u32_e64 v4, null, 0, v2, vcc_lo
	s_delay_alu instid0(VALU_DEP_1)
	v_lshlrev_b32_e32 v4, 2, v4
	v_cmp_gt_u32_e32 vcc_lo, 6, v3
	v_cndmask_b32_e64 v3, 0, 2, vcc_lo
	s_wait_dscnt 0x0
	ds_bpermute_b32 v4, v4, v1
	v_add_lshl_u32 v3, v3, v2, 2
	v_lshlrev_b32_e32 v2, 2, v2
	s_wait_dscnt 0x0
	s_delay_alu instid0(VALU_DEP_1)
	v_dual_add_f32 v1, v1, v4 :: v_dual_bitop2_b32 v2, 16, v2 bitop3:0x54
	ds_bpermute_b32 v3, v3, v1
	s_wait_dscnt 0x0
	v_add_f32_e32 v1, v1, v3
	ds_bpermute_b32 v2, v2, v1
	s_wait_dscnt 0x0
	v_add_f32_e32 v1, v1, v2
.LBB9_9:
	s_or_b32 exec_lo, exec_lo, s3
.LBB9_10:
	v_cmp_eq_u32_e64 s2, 0, v0
	s_and_b32 vcc_lo, exec_lo, s42
	s_cbranch_vccnz .LBB9_15
	s_branch .LBB9_93
.LBB9_11:
	s_mov_b32 s2, 0
                                        ; implicit-def: $vgpr1
                                        ; implicit-def: $sgpr34_sgpr35
	s_cbranch_execnz .LBB9_166
	s_branch .LBB9_224
.LBB9_12:
	s_mov_b32 s2, 0
                                        ; implicit-def: $vgpr1
                                        ; implicit-def: $sgpr34_sgpr35
	s_cbranch_execnz .LBB9_134
	s_branch .LBB9_142
.LBB9_13:
	s_mov_b32 s42, -1
.LBB9_14:
	s_mov_b32 s2, 0
                                        ; implicit-def: $vgpr1
                                        ; implicit-def: $sgpr34_sgpr35
	s_and_b32 vcc_lo, exec_lo, s42
	s_cbranch_vccz .LBB9_93
.LBB9_15:
	s_cmp_eq_u32 s33, 16
	s_cbranch_scc0 .LBB9_22
; %bb.16:
	s_bfe_u32 s2, ttmp6, 0x4000c
	s_and_b32 s3, ttmp6, 15
	s_add_co_i32 s2, s2, 1
	s_getreg_b32 s4, hwreg(HW_REG_IB_STS2, 6, 4)
	s_mul_i32 s2, ttmp9, s2
	s_mov_b32 s35, 0
	s_add_co_i32 s3, s3, s2
	s_cmp_eq_u32 s4, 0
	s_cselect_b32 s34, ttmp9, s3
	s_mov_b32 s3, s35
	s_lshl_b32 s2, s34, 12
	s_lshr_b64 s[4:5], s[38:39], 12
	s_lshl_b64 s[6:7], s[2:3], 2
	s_cmp_lg_u64 s[4:5], s[34:35]
	s_add_nc_u64 s[16:17], s[36:37], s[6:7]
	s_cbranch_scc0 .LBB9_94
; %bb.17:
	s_clause 0xf
	global_load_b32 v1, v0, s[16:17] scale_offset
	global_load_b32 v2, v0, s[16:17] offset:1024 scale_offset
	global_load_b32 v3, v0, s[16:17] offset:2048 scale_offset
	;; [unrolled: 1-line block ×15, first 2 shown]
	s_mov_b32 s3, exec_lo
	s_wait_loadcnt 0xe
	v_add_f32_e32 v1, v1, v2
	s_wait_loadcnt 0xd
	s_delay_alu instid0(VALU_DEP_1) | instskip(SKIP_1) | instid1(VALU_DEP_1)
	v_add_f32_e32 v1, v1, v3
	s_wait_loadcnt 0xc
	v_add_f32_e32 v1, v1, v4
	s_wait_loadcnt 0xb
	s_delay_alu instid0(VALU_DEP_1) | instskip(SKIP_1) | instid1(VALU_DEP_1)
	v_add_f32_e32 v1, v1, v5
	;; [unrolled: 5-line block ×7, first 2 shown]
	s_wait_loadcnt 0x0
	v_add_f32_e32 v1, v1, v16
	s_delay_alu instid0(VALU_DEP_1) | instskip(NEXT) | instid1(VALU_DEP_1)
	v_mov_b32_dpp v2, v1 quad_perm:[1,0,3,2] row_mask:0xf bank_mask:0xf
	v_add_f32_e32 v1, v1, v2
	s_delay_alu instid0(VALU_DEP_1) | instskip(NEXT) | instid1(VALU_DEP_1)
	v_mov_b32_dpp v2, v1 quad_perm:[2,3,0,1] row_mask:0xf bank_mask:0xf
	v_add_f32_e32 v1, v1, v2
	s_delay_alu instid0(VALU_DEP_1) | instskip(NEXT) | instid1(VALU_DEP_1)
	v_mov_b32_dpp v2, v1 row_ror:4 row_mask:0xf bank_mask:0xf
	v_add_f32_e32 v1, v1, v2
	s_delay_alu instid0(VALU_DEP_1) | instskip(NEXT) | instid1(VALU_DEP_1)
	v_mov_b32_dpp v2, v1 row_ror:8 row_mask:0xf bank_mask:0xf
	v_add_f32_e32 v1, v1, v2
	ds_swizzle_b32 v2, v1 offset:swizzle(BROADCAST,32,15)
	s_wait_dscnt 0x0
	v_dual_add_f32 v1, v1, v2 :: v_dual_mov_b32 v2, 0
	ds_bpermute_b32 v1, v2, v1 offset:124
	v_mbcnt_lo_u32_b32 v2, -1, 0
	s_delay_alu instid0(VALU_DEP_1)
	v_cmpx_eq_u32_e32 0, v2
	s_cbranch_execz .LBB9_19
; %bb.18:
	v_lshrrev_b32_e32 v3, 3, v0
	s_delay_alu instid0(VALU_DEP_1)
	v_and_b32_e32 v3, 28, v3
	s_wait_dscnt 0x0
	ds_store_b32 v3, v1
.LBB9_19:
	s_or_b32 exec_lo, exec_lo, s3
	s_delay_alu instid0(SALU_CYCLE_1)
	s_mov_b32 s3, exec_lo
	s_wait_dscnt 0x0
	s_barrier_signal -1
	s_barrier_wait -1
	v_cmpx_gt_u32_e32 32, v0
	s_cbranch_execz .LBB9_21
; %bb.20:
	v_and_b32_e32 v1, 7, v2
	s_delay_alu instid0(VALU_DEP_1) | instskip(SKIP_1) | instid1(VALU_DEP_1)
	v_cmp_ne_u32_e32 vcc_lo, 7, v1
	v_add_co_ci_u32_e64 v4, null, 0, v2, vcc_lo
	v_lshlrev_b32_e32 v4, 2, v4
	v_cmp_gt_u32_e32 vcc_lo, 6, v1
	v_lshlrev_b32_e32 v3, 2, v1
	v_cndmask_b32_e64 v1, 0, 2, vcc_lo
	s_delay_alu instid0(VALU_DEP_1)
	v_add_lshl_u32 v1, v1, v2, 2
	v_lshlrev_b32_e32 v2, 2, v2
	ds_load_b32 v3, v3
	v_or_b32_e32 v2, 16, v2
	s_wait_dscnt 0x0
	ds_bpermute_b32 v4, v4, v3
	s_wait_dscnt 0x0
	v_add_f32_e32 v3, v3, v4
	ds_bpermute_b32 v1, v1, v3
	s_wait_dscnt 0x0
	v_add_f32_e32 v1, v3, v1
	;; [unrolled: 3-line block ×3, first 2 shown]
.LBB9_21:
	s_or_b32 exec_lo, exec_lo, s3
	s_mov_b32 s3, 0
	s_branch .LBB9_95
.LBB9_22:
                                        ; implicit-def: $vgpr1
                                        ; implicit-def: $sgpr34_sgpr35
	s_branch .LBB9_142
.LBB9_23:
                                        ; implicit-def: $vgpr1
	s_cbranch_execz .LBB9_10
; %bb.24:
	v_mov_b32_e32 v2, 0
	s_sub_co_i32 s43, s38, s2
	s_delay_alu instid0(SALU_CYCLE_1) | instskip(NEXT) | instid1(VALU_DEP_2)
	v_cmp_gt_u32_e32 vcc_lo, s43, v0
	v_dual_mov_b32 v3, v2 :: v_dual_mov_b32 v4, v2
	v_dual_mov_b32 v5, v2 :: v_dual_mov_b32 v6, v2
	;; [unrolled: 1-line block ×15, first 2 shown]
	v_mov_b32_e32 v33, v2
	s_and_saveexec_b32 s2, vcc_lo
	s_cbranch_execz .LBB9_26
; %bb.25:
	global_load_b32 v4, v0, s[40:41] scale_offset
	v_dual_mov_b32 v5, v2 :: v_dual_mov_b32 v6, v2
	v_dual_mov_b32 v33, v2 :: v_dual_mov_b32 v34, v2
	;; [unrolled: 1-line block ×15, first 2 shown]
	v_mov_b32_e32 v32, v2
	s_wait_loadcnt 0x0
	v_mov_b64_e32 v[2:3], v[4:5]
	v_mov_b64_e32 v[4:5], v[6:7]
	;; [unrolled: 1-line block ×16, first 2 shown]
.LBB9_26:
	s_or_b32 exec_lo, exec_lo, s2
	v_or_b32_e32 v1, 0x100, v0
	s_delay_alu instid0(VALU_DEP_1)
	v_cmp_gt_u32_e32 vcc_lo, s43, v1
	s_and_saveexec_b32 s2, vcc_lo
	s_cbranch_execz .LBB9_28
; %bb.27:
	global_load_b32 v3, v0, s[40:41] offset:1024 scale_offset
.LBB9_28:
	s_wait_xcnt 0x0
	s_or_b32 exec_lo, exec_lo, s2
	v_or_b32_e32 v1, 0x200, v0
	s_delay_alu instid0(VALU_DEP_1)
	v_cmp_gt_u32_e64 s2, s43, v1
	s_and_saveexec_b32 s3, s2
	s_cbranch_execz .LBB9_30
; %bb.29:
	global_load_b32 v4, v0, s[40:41] offset:2048 scale_offset
.LBB9_30:
	s_wait_xcnt 0x0
	s_or_b32 exec_lo, exec_lo, s3
	v_or_b32_e32 v1, 0x300, v0
	s_delay_alu instid0(VALU_DEP_1)
	v_cmp_gt_u32_e64 s3, s43, v1
	s_and_saveexec_b32 s4, s3
	;; [unrolled: 10-line block ×30, first 2 shown]
	s_cbranch_execz .LBB9_88
; %bb.87:
	global_load_b32 v33, v0, s[40:41] offset:31744 scale_offset
.LBB9_88:
	s_wait_xcnt 0x0
	s_or_b32 exec_lo, exec_lo, s44
	s_wait_loadcnt 0x0
	v_add_f32_e32 v1, v2, v3
	s_delay_alu instid0(VALU_DEP_1) | instskip(NEXT) | instid1(VALU_DEP_1)
	v_cndmask_b32_e32 v1, v2, v1, vcc_lo
	v_add_f32_e32 v2, v4, v1
	s_delay_alu instid0(VALU_DEP_1) | instskip(NEXT) | instid1(VALU_DEP_1)
	v_cndmask_b32_e64 v1, v1, v2, s2
	v_add_f32_e32 v2, v5, v1
	s_delay_alu instid0(VALU_DEP_1) | instskip(SKIP_1) | instid1(VALU_DEP_1)
	v_cndmask_b32_e64 v1, v1, v2, s3
	s_min_u32 s3, s43, 0x100
	v_add_f32_e32 v2, v6, v1
	s_delay_alu instid0(VALU_DEP_1) | instskip(NEXT) | instid1(VALU_DEP_1)
	v_cndmask_b32_e64 v1, v1, v2, s4
	v_add_f32_e32 v2, v7, v1
	s_delay_alu instid0(VALU_DEP_1) | instskip(NEXT) | instid1(VALU_DEP_1)
	v_cndmask_b32_e64 v1, v1, v2, s5
	;; [unrolled: 3-line block ×25, first 2 shown]
	v_add_f32_e32 v2, v31, v1
	s_delay_alu instid0(VALU_DEP_1) | instskip(SKIP_1) | instid1(VALU_DEP_2)
	v_cndmask_b32_e64 v1, v1, v2, s29
	v_mbcnt_lo_u32_b32 v2, -1, 0
	v_add_f32_e32 v3, v32, v1
	s_delay_alu instid0(VALU_DEP_2) | instskip(SKIP_2) | instid1(VALU_DEP_4)
	v_cmp_ne_u32_e32 vcc_lo, 31, v2
	v_add_nc_u32_e32 v6, 1, v2
	v_cmp_gt_u32_e64 s2, 28, v2
	v_dual_add_nc_u32 v7, 2, v2 :: v_dual_cndmask_b32 v1, v1, v3, s30
	v_add_co_ci_u32_e64 v3, null, 0, v2, vcc_lo
	v_cmp_gt_u32_e32 vcc_lo, 30, v2
	s_delay_alu instid0(VALU_DEP_2) | instskip(SKIP_1) | instid1(VALU_DEP_2)
	v_dual_add_f32 v4, v33, v1 :: v_dual_lshlrev_b32 v3, 2, v3
	v_cndmask_b32_e64 v5, 0, 2, vcc_lo
	v_cndmask_b32_e64 v1, v1, v4, s31
	v_and_b32_e32 v4, 0xe0, v0
	s_delay_alu instid0(VALU_DEP_3) | instskip(SKIP_2) | instid1(VALU_DEP_1)
	v_add_lshl_u32 v5, v5, v2, 2
	ds_bpermute_b32 v3, v3, v1
	v_sub_nc_u32_e64 v4, s3, v4 clamp
	v_cmp_lt_u32_e32 vcc_lo, v6, v4
	v_cndmask_b32_e64 v6, 0, 4, s2
	v_cmp_lt_u32_e64 s2, v7, v4
	v_add_nc_u32_e32 v7, 4, v2
	s_delay_alu instid0(VALU_DEP_3) | instskip(SKIP_2) | instid1(VALU_DEP_1)
	v_add_lshl_u32 v6, v6, v2, 2
	s_wait_dscnt 0x0
	v_add_f32_e32 v3, v1, v3
	v_cndmask_b32_e32 v3, v1, v3, vcc_lo
	ds_bpermute_b32 v5, v5, v3
	s_wait_dscnt 0x0
	v_add_f32_e32 v5, v3, v5
	s_delay_alu instid0(VALU_DEP_1)
	v_cndmask_b32_e64 v3, v3, v5, s2
	v_cmp_gt_u32_e64 s2, 24, v2
	ds_bpermute_b32 v5, v6, v3
	v_cndmask_b32_e64 v6, 0, 8, s2
	v_cmp_lt_u32_e64 s2, v7, v4
	v_add_nc_u32_e32 v7, 8, v2
	s_delay_alu instid0(VALU_DEP_3) | instskip(SKIP_2) | instid1(VALU_DEP_1)
	v_add_lshl_u32 v6, v6, v2, 2
	s_wait_dscnt 0x0
	v_add_f32_e32 v5, v3, v5
	v_dual_cndmask_b32 v5, v3, v5, s2 :: v_dual_lshlrev_b32 v3, 2, v2
	v_cmp_lt_u32_e64 s2, v7, v4
	v_add_nc_u32_e32 v7, 16, v2
	ds_bpermute_b32 v6, v6, v5
	s_wait_dscnt 0x0
	v_dual_add_f32 v6, v5, v6 :: v_dual_bitop2_b32 v8, 64, v3 bitop3:0x54
	s_delay_alu instid0(VALU_DEP_1) | instskip(SKIP_4) | instid1(VALU_DEP_1)
	v_cndmask_b32_e64 v5, v5, v6, s2
	v_cmp_lt_u32_e64 s2, v7, v4
	ds_bpermute_b32 v6, v8, v5
	s_wait_dscnt 0x0
	v_add_f32_e32 v6, v5, v6
	v_cndmask_b32_e64 v4, v5, v6, s2
	s_mov_b32 s2, exec_lo
	s_delay_alu instid0(VALU_DEP_1)
	v_cndmask_b32_e32 v1, v1, v4, vcc_lo
	v_cmpx_eq_u32_e32 0, v2
; %bb.89:
	v_lshrrev_b32_e32 v4, 3, v0
	s_delay_alu instid0(VALU_DEP_1)
	v_and_b32_e32 v4, 28, v4
	ds_store_b32 v4, v1 offset:192
; %bb.90:
	s_or_b32 exec_lo, exec_lo, s2
	s_delay_alu instid0(SALU_CYCLE_1)
	s_mov_b32 s4, exec_lo
	s_wait_dscnt 0x0
	s_barrier_signal -1
	s_barrier_wait -1
	v_cmpx_gt_u32_e32 8, v0
	s_cbranch_execz .LBB9_92
; %bb.91:
	ds_load_b32 v1, v3 offset:192
	v_and_b32_e32 v4, 7, v2
	s_add_co_i32 s3, s3, 31
	v_or_b32_e32 v3, 16, v3
	s_lshr_b32 s3, s3, 5
	s_delay_alu instid0(VALU_DEP_2) | instskip(SKIP_1) | instid1(VALU_DEP_1)
	v_cmp_ne_u32_e32 vcc_lo, 7, v4
	v_add_co_ci_u32_e64 v5, null, 0, v2, vcc_lo
	v_lshlrev_b32_e32 v5, 2, v5
	v_cmp_gt_u32_e32 vcc_lo, 6, v4
	s_wait_dscnt 0x0
	ds_bpermute_b32 v5, v5, v1
	v_add_nc_u32_e32 v7, 1, v4
	v_cndmask_b32_e64 v6, 0, 2, vcc_lo
	s_delay_alu instid0(VALU_DEP_1) | instskip(SKIP_1) | instid1(VALU_DEP_1)
	v_add_lshl_u32 v2, v6, v2, 2
	v_dual_add_nc_u32 v6, 2, v4 :: v_dual_add_nc_u32 v4, 4, v4
	v_cmp_gt_u32_e64 s2, s3, v6
	s_wait_dscnt 0x0
	v_add_f32_e32 v5, v1, v5
	v_cmp_gt_u32_e32 vcc_lo, s3, v7
	s_delay_alu instid0(VALU_DEP_2) | instskip(SKIP_3) | instid1(VALU_DEP_1)
	v_cndmask_b32_e32 v5, v1, v5, vcc_lo
	ds_bpermute_b32 v2, v2, v5
	s_wait_dscnt 0x0
	v_add_f32_e32 v2, v5, v2
	v_cndmask_b32_e64 v2, v5, v2, s2
	v_cmp_gt_u32_e64 s2, s3, v4
	ds_bpermute_b32 v3, v3, v2
	s_wait_dscnt 0x0
	v_add_f32_e32 v3, v2, v3
	s_delay_alu instid0(VALU_DEP_1) | instskip(NEXT) | instid1(VALU_DEP_1)
	v_cndmask_b32_e64 v2, v2, v3, s2
	v_cndmask_b32_e32 v1, v1, v2, vcc_lo
.LBB9_92:
	s_or_b32 exec_lo, exec_lo, s4
	v_cmp_eq_u32_e64 s2, 0, v0
	s_and_b32 vcc_lo, exec_lo, s42
	s_cbranch_vccnz .LBB9_15
.LBB9_93:
	s_branch .LBB9_142
.LBB9_94:
	s_mov_b32 s3, -1
                                        ; implicit-def: $vgpr1
.LBB9_95:
	s_delay_alu instid0(SALU_CYCLE_1)
	s_and_b32 vcc_lo, exec_lo, s3
	s_cbranch_vccz .LBB9_133
; %bb.96:
	v_mov_b32_e32 v2, 0
	s_sub_co_i32 s18, s38, s2
	s_mov_b32 s2, exec_lo
	s_delay_alu instid0(VALU_DEP_1)
	v_dual_mov_b32 v3, v2 :: v_dual_mov_b32 v4, v2
	v_dual_mov_b32 v5, v2 :: v_dual_mov_b32 v6, v2
	;; [unrolled: 1-line block ×7, first 2 shown]
	v_mov_b32_e32 v17, v2
	v_cmpx_gt_u32_e64 s18, v0
	s_cbranch_execz .LBB9_98
; %bb.97:
	global_load_b32 v4, v0, s[16:17] scale_offset
	v_dual_mov_b32 v5, v2 :: v_dual_mov_b32 v6, v2
	v_dual_mov_b32 v17, v2 :: v_dual_mov_b32 v18, v2
	;; [unrolled: 1-line block ×7, first 2 shown]
	v_mov_b32_e32 v16, v2
	s_wait_loadcnt 0x0
	v_mov_b64_e32 v[2:3], v[4:5]
	v_mov_b64_e32 v[4:5], v[6:7]
	;; [unrolled: 1-line block ×8, first 2 shown]
.LBB9_98:
	s_or_b32 exec_lo, exec_lo, s2
	v_or_b32_e32 v1, 0x100, v0
	s_delay_alu instid0(VALU_DEP_1)
	v_cmp_gt_u32_e32 vcc_lo, s18, v1
	s_and_saveexec_b32 s2, vcc_lo
	s_cbranch_execz .LBB9_100
; %bb.99:
	global_load_b32 v3, v0, s[16:17] offset:1024 scale_offset
.LBB9_100:
	s_wait_xcnt 0x0
	s_or_b32 exec_lo, exec_lo, s2
	v_or_b32_e32 v1, 0x200, v0
	s_delay_alu instid0(VALU_DEP_1)
	v_cmp_gt_u32_e64 s2, s18, v1
	s_and_saveexec_b32 s3, s2
	s_cbranch_execz .LBB9_102
; %bb.101:
	global_load_b32 v4, v0, s[16:17] offset:2048 scale_offset
.LBB9_102:
	s_wait_xcnt 0x0
	s_or_b32 exec_lo, exec_lo, s3
	v_or_b32_e32 v1, 0x300, v0
	s_delay_alu instid0(VALU_DEP_1)
	v_cmp_gt_u32_e64 s3, s18, v1
	s_and_saveexec_b32 s4, s3
	;; [unrolled: 10-line block ×14, first 2 shown]
	s_cbranch_execz .LBB9_128
; %bb.127:
	global_load_b32 v17, v0, s[16:17] offset:15360 scale_offset
.LBB9_128:
	s_wait_xcnt 0x0
	s_or_b32 exec_lo, exec_lo, s19
	s_wait_loadcnt 0x0
	v_add_f32_e32 v1, v2, v3
	s_delay_alu instid0(VALU_DEP_1) | instskip(NEXT) | instid1(VALU_DEP_1)
	v_cndmask_b32_e32 v1, v2, v1, vcc_lo
	v_add_f32_e32 v2, v4, v1
	s_delay_alu instid0(VALU_DEP_1) | instskip(NEXT) | instid1(VALU_DEP_1)
	v_cndmask_b32_e64 v1, v1, v2, s2
	v_add_f32_e32 v2, v5, v1
	s_delay_alu instid0(VALU_DEP_1) | instskip(SKIP_1) | instid1(VALU_DEP_1)
	v_cndmask_b32_e64 v1, v1, v2, s3
	s_min_u32 s3, s18, 0x100
	v_add_f32_e32 v2, v6, v1
	s_delay_alu instid0(VALU_DEP_1) | instskip(NEXT) | instid1(VALU_DEP_1)
	v_cndmask_b32_e64 v1, v1, v2, s4
	v_add_f32_e32 v2, v7, v1
	s_delay_alu instid0(VALU_DEP_1) | instskip(NEXT) | instid1(VALU_DEP_1)
	v_cndmask_b32_e64 v1, v1, v2, s5
	;; [unrolled: 3-line block ×9, first 2 shown]
	v_add_f32_e32 v2, v15, v1
	s_delay_alu instid0(VALU_DEP_1) | instskip(SKIP_1) | instid1(VALU_DEP_2)
	v_cndmask_b32_e64 v1, v1, v2, s13
	v_mbcnt_lo_u32_b32 v2, -1, 0
	v_add_f32_e32 v3, v16, v1
	s_delay_alu instid0(VALU_DEP_2) | instskip(SKIP_2) | instid1(VALU_DEP_4)
	v_cmp_ne_u32_e32 vcc_lo, 31, v2
	v_add_nc_u32_e32 v6, 1, v2
	v_cmp_gt_u32_e64 s2, 28, v2
	v_dual_add_nc_u32 v7, 2, v2 :: v_dual_cndmask_b32 v1, v1, v3, s14
	v_add_co_ci_u32_e64 v3, null, 0, v2, vcc_lo
	v_cmp_gt_u32_e32 vcc_lo, 30, v2
	s_delay_alu instid0(VALU_DEP_2) | instskip(SKIP_1) | instid1(VALU_DEP_2)
	v_dual_add_f32 v4, v17, v1 :: v_dual_lshlrev_b32 v3, 2, v3
	v_cndmask_b32_e64 v5, 0, 2, vcc_lo
	v_cndmask_b32_e64 v1, v1, v4, s15
	v_and_b32_e32 v4, 0xe0, v0
	s_delay_alu instid0(VALU_DEP_3) | instskip(SKIP_2) | instid1(VALU_DEP_1)
	v_add_lshl_u32 v5, v5, v2, 2
	ds_bpermute_b32 v3, v3, v1
	v_sub_nc_u32_e64 v4, s3, v4 clamp
	v_cmp_lt_u32_e32 vcc_lo, v6, v4
	v_cndmask_b32_e64 v6, 0, 4, s2
	v_cmp_lt_u32_e64 s2, v7, v4
	v_add_nc_u32_e32 v7, 4, v2
	s_delay_alu instid0(VALU_DEP_3) | instskip(SKIP_2) | instid1(VALU_DEP_1)
	v_add_lshl_u32 v6, v6, v2, 2
	s_wait_dscnt 0x0
	v_add_f32_e32 v3, v1, v3
	v_cndmask_b32_e32 v3, v1, v3, vcc_lo
	ds_bpermute_b32 v5, v5, v3
	s_wait_dscnt 0x0
	v_add_f32_e32 v5, v3, v5
	s_delay_alu instid0(VALU_DEP_1)
	v_cndmask_b32_e64 v3, v3, v5, s2
	v_cmp_gt_u32_e64 s2, 24, v2
	ds_bpermute_b32 v5, v6, v3
	v_cndmask_b32_e64 v6, 0, 8, s2
	v_cmp_lt_u32_e64 s2, v7, v4
	v_add_nc_u32_e32 v7, 8, v2
	s_delay_alu instid0(VALU_DEP_3) | instskip(SKIP_2) | instid1(VALU_DEP_1)
	v_add_lshl_u32 v6, v6, v2, 2
	s_wait_dscnt 0x0
	v_add_f32_e32 v5, v3, v5
	v_dual_cndmask_b32 v5, v3, v5, s2 :: v_dual_lshlrev_b32 v3, 2, v2
	v_cmp_lt_u32_e64 s2, v7, v4
	v_add_nc_u32_e32 v7, 16, v2
	ds_bpermute_b32 v6, v6, v5
	s_wait_dscnt 0x0
	v_dual_add_f32 v6, v5, v6 :: v_dual_bitop2_b32 v8, 64, v3 bitop3:0x54
	s_delay_alu instid0(VALU_DEP_1) | instskip(SKIP_4) | instid1(VALU_DEP_1)
	v_cndmask_b32_e64 v5, v5, v6, s2
	v_cmp_lt_u32_e64 s2, v7, v4
	ds_bpermute_b32 v6, v8, v5
	s_wait_dscnt 0x0
	v_add_f32_e32 v6, v5, v6
	v_cndmask_b32_e64 v4, v5, v6, s2
	s_mov_b32 s2, exec_lo
	s_delay_alu instid0(VALU_DEP_1)
	v_cndmask_b32_e32 v1, v1, v4, vcc_lo
	v_cmpx_eq_u32_e32 0, v2
; %bb.129:
	v_lshrrev_b32_e32 v4, 3, v0
	s_delay_alu instid0(VALU_DEP_1)
	v_and_b32_e32 v4, 28, v4
	ds_store_b32 v4, v1 offset:192
; %bb.130:
	s_or_b32 exec_lo, exec_lo, s2
	s_delay_alu instid0(SALU_CYCLE_1)
	s_mov_b32 s4, exec_lo
	s_wait_dscnt 0x0
	s_barrier_signal -1
	s_barrier_wait -1
	v_cmpx_gt_u32_e32 8, v0
	s_cbranch_execz .LBB9_132
; %bb.131:
	ds_load_b32 v1, v3 offset:192
	v_and_b32_e32 v4, 7, v2
	s_add_co_i32 s3, s3, 31
	v_or_b32_e32 v3, 16, v3
	s_lshr_b32 s3, s3, 5
	s_delay_alu instid0(VALU_DEP_2) | instskip(SKIP_1) | instid1(VALU_DEP_1)
	v_cmp_ne_u32_e32 vcc_lo, 7, v4
	v_add_co_ci_u32_e64 v5, null, 0, v2, vcc_lo
	v_lshlrev_b32_e32 v5, 2, v5
	v_cmp_gt_u32_e32 vcc_lo, 6, v4
	s_wait_dscnt 0x0
	ds_bpermute_b32 v5, v5, v1
	v_add_nc_u32_e32 v7, 1, v4
	v_cndmask_b32_e64 v6, 0, 2, vcc_lo
	s_delay_alu instid0(VALU_DEP_1) | instskip(SKIP_1) | instid1(VALU_DEP_1)
	v_add_lshl_u32 v2, v6, v2, 2
	v_dual_add_nc_u32 v6, 2, v4 :: v_dual_add_nc_u32 v4, 4, v4
	v_cmp_gt_u32_e64 s2, s3, v6
	s_wait_dscnt 0x0
	v_add_f32_e32 v5, v1, v5
	v_cmp_gt_u32_e32 vcc_lo, s3, v7
	s_delay_alu instid0(VALU_DEP_2) | instskip(SKIP_3) | instid1(VALU_DEP_1)
	v_cndmask_b32_e32 v5, v1, v5, vcc_lo
	ds_bpermute_b32 v2, v2, v5
	s_wait_dscnt 0x0
	v_add_f32_e32 v2, v5, v2
	v_cndmask_b32_e64 v2, v5, v2, s2
	v_cmp_gt_u32_e64 s2, s3, v4
	ds_bpermute_b32 v3, v3, v2
	s_wait_dscnt 0x0
	v_add_f32_e32 v3, v2, v3
	s_delay_alu instid0(VALU_DEP_1) | instskip(NEXT) | instid1(VALU_DEP_1)
	v_cndmask_b32_e64 v2, v2, v3, s2
	v_cndmask_b32_e32 v1, v1, v2, vcc_lo
.LBB9_132:
	s_or_b32 exec_lo, exec_lo, s4
.LBB9_133:
	v_cmp_eq_u32_e64 s2, 0, v0
	s_branch .LBB9_142
.LBB9_134:
	s_cmp_eq_u32 s33, 8
	s_cbranch_scc0 .LBB9_141
; %bb.135:
	s_bfe_u32 s2, ttmp6, 0x4000c
	s_and_b32 s3, ttmp6, 15
	s_add_co_i32 s2, s2, 1
	s_getreg_b32 s4, hwreg(HW_REG_IB_STS2, 6, 4)
	s_mul_i32 s2, ttmp9, s2
	s_mov_b32 s35, 0
	s_add_co_i32 s3, s3, s2
	s_cmp_eq_u32 s4, 0
	s_cselect_b32 s34, ttmp9, s3
	s_mov_b32 s3, s35
	s_lshl_b32 s2, s34, 11
	s_lshr_b64 s[4:5], s[38:39], 11
	s_lshl_b64 s[6:7], s[2:3], 2
	s_cmp_lg_u64 s[4:5], s[34:35]
	s_add_nc_u64 s[8:9], s[36:37], s[6:7]
	s_cbranch_scc0 .LBB9_143
; %bb.136:
	s_clause 0x7
	global_load_b32 v1, v0, s[8:9] scale_offset
	global_load_b32 v2, v0, s[8:9] offset:1024 scale_offset
	global_load_b32 v3, v0, s[8:9] offset:2048 scale_offset
	;; [unrolled: 1-line block ×7, first 2 shown]
	s_mov_b32 s3, exec_lo
	s_wait_loadcnt 0x6
	v_add_f32_e32 v1, v1, v2
	s_wait_loadcnt 0x5
	s_delay_alu instid0(VALU_DEP_1) | instskip(SKIP_1) | instid1(VALU_DEP_1)
	v_add_f32_e32 v1, v1, v3
	s_wait_loadcnt 0x4
	v_add_f32_e32 v1, v1, v4
	s_wait_loadcnt 0x3
	s_delay_alu instid0(VALU_DEP_1) | instskip(SKIP_1) | instid1(VALU_DEP_1)
	v_add_f32_e32 v1, v1, v5
	s_wait_loadcnt 0x2
	v_add_f32_e32 v1, v1, v6
	s_wait_loadcnt 0x1
	s_delay_alu instid0(VALU_DEP_1) | instskip(SKIP_1) | instid1(VALU_DEP_1)
	v_add_f32_e32 v1, v1, v7
	s_wait_loadcnt 0x0
	v_add_f32_e32 v1, v1, v8
	s_delay_alu instid0(VALU_DEP_1) | instskip(NEXT) | instid1(VALU_DEP_1)
	v_mov_b32_dpp v2, v1 quad_perm:[1,0,3,2] row_mask:0xf bank_mask:0xf
	v_add_f32_e32 v1, v1, v2
	s_delay_alu instid0(VALU_DEP_1) | instskip(NEXT) | instid1(VALU_DEP_1)
	v_mov_b32_dpp v2, v1 quad_perm:[2,3,0,1] row_mask:0xf bank_mask:0xf
	v_add_f32_e32 v1, v1, v2
	s_delay_alu instid0(VALU_DEP_1) | instskip(NEXT) | instid1(VALU_DEP_1)
	v_mov_b32_dpp v2, v1 row_ror:4 row_mask:0xf bank_mask:0xf
	v_add_f32_e32 v1, v1, v2
	s_delay_alu instid0(VALU_DEP_1) | instskip(NEXT) | instid1(VALU_DEP_1)
	v_mov_b32_dpp v2, v1 row_ror:8 row_mask:0xf bank_mask:0xf
	v_add_f32_e32 v1, v1, v2
	ds_swizzle_b32 v2, v1 offset:swizzle(BROADCAST,32,15)
	s_wait_dscnt 0x0
	v_dual_add_f32 v1, v1, v2 :: v_dual_mov_b32 v2, 0
	ds_bpermute_b32 v1, v2, v1 offset:124
	v_mbcnt_lo_u32_b32 v2, -1, 0
	s_delay_alu instid0(VALU_DEP_1)
	v_cmpx_eq_u32_e32 0, v2
	s_cbranch_execz .LBB9_138
; %bb.137:
	v_lshrrev_b32_e32 v3, 3, v0
	s_delay_alu instid0(VALU_DEP_1)
	v_and_b32_e32 v3, 28, v3
	s_wait_dscnt 0x0
	ds_store_b32 v3, v1 offset:160
.LBB9_138:
	s_or_b32 exec_lo, exec_lo, s3
	s_delay_alu instid0(SALU_CYCLE_1)
	s_mov_b32 s3, exec_lo
	s_wait_dscnt 0x0
	s_barrier_signal -1
	s_barrier_wait -1
	v_cmpx_gt_u32_e32 32, v0
	s_cbranch_execz .LBB9_140
; %bb.139:
	v_and_b32_e32 v1, 7, v2
	s_delay_alu instid0(VALU_DEP_1) | instskip(SKIP_1) | instid1(VALU_DEP_1)
	v_cmp_ne_u32_e32 vcc_lo, 7, v1
	v_add_co_ci_u32_e64 v4, null, 0, v2, vcc_lo
	v_lshlrev_b32_e32 v4, 2, v4
	v_cmp_gt_u32_e32 vcc_lo, 6, v1
	v_lshlrev_b32_e32 v3, 2, v1
	v_cndmask_b32_e64 v1, 0, 2, vcc_lo
	s_delay_alu instid0(VALU_DEP_1)
	v_add_lshl_u32 v1, v1, v2, 2
	v_lshlrev_b32_e32 v2, 2, v2
	ds_load_b32 v3, v3 offset:160
	v_or_b32_e32 v2, 16, v2
	s_wait_dscnt 0x0
	ds_bpermute_b32 v4, v4, v3
	s_wait_dscnt 0x0
	v_add_f32_e32 v3, v3, v4
	ds_bpermute_b32 v1, v1, v3
	s_wait_dscnt 0x0
	v_add_f32_e32 v1, v3, v1
	;; [unrolled: 3-line block ×3, first 2 shown]
.LBB9_140:
	s_or_b32 exec_lo, exec_lo, s3
	s_branch .LBB9_165
.LBB9_141:
                                        ; implicit-def: $vgpr1
                                        ; implicit-def: $sgpr34_sgpr35
.LBB9_142:
	s_branch .LBB9_224
.LBB9_143:
                                        ; implicit-def: $vgpr1
	s_cbranch_execz .LBB9_165
; %bb.144:
	v_mov_b32_e32 v2, 0
	s_sub_co_i32 s10, s38, s2
	s_mov_b32 s2, exec_lo
	s_delay_alu instid0(VALU_DEP_1)
	v_dual_mov_b32 v3, v2 :: v_dual_mov_b32 v4, v2
	v_dual_mov_b32 v5, v2 :: v_dual_mov_b32 v6, v2
	;; [unrolled: 1-line block ×3, first 2 shown]
	v_mov_b32_e32 v9, v2
	v_cmpx_gt_u32_e64 s10, v0
	s_cbranch_execz .LBB9_146
; %bb.145:
	global_load_b32 v4, v0, s[8:9] scale_offset
	v_dual_mov_b32 v5, v2 :: v_dual_mov_b32 v6, v2
	v_dual_mov_b32 v9, v2 :: v_dual_mov_b32 v10, v2
	;; [unrolled: 1-line block ×3, first 2 shown]
	v_mov_b32_e32 v8, v2
	s_wait_loadcnt 0x0
	v_mov_b64_e32 v[2:3], v[4:5]
	s_delay_alu instid0(VALU_DEP_3) | instskip(NEXT) | instid1(VALU_DEP_3)
	v_mov_b64_e32 v[4:5], v[6:7]
	v_mov_b64_e32 v[6:7], v[8:9]
	;; [unrolled: 1-line block ×3, first 2 shown]
.LBB9_146:
	s_or_b32 exec_lo, exec_lo, s2
	v_or_b32_e32 v1, 0x100, v0
	s_delay_alu instid0(VALU_DEP_1)
	v_cmp_gt_u32_e32 vcc_lo, s10, v1
	s_and_saveexec_b32 s2, vcc_lo
	s_cbranch_execz .LBB9_148
; %bb.147:
	global_load_b32 v3, v0, s[8:9] offset:1024 scale_offset
.LBB9_148:
	s_wait_xcnt 0x0
	s_or_b32 exec_lo, exec_lo, s2
	v_or_b32_e32 v1, 0x200, v0
	s_delay_alu instid0(VALU_DEP_1)
	v_cmp_gt_u32_e64 s2, s10, v1
	s_and_saveexec_b32 s3, s2
	s_cbranch_execz .LBB9_150
; %bb.149:
	global_load_b32 v4, v0, s[8:9] offset:2048 scale_offset
.LBB9_150:
	s_wait_xcnt 0x0
	s_or_b32 exec_lo, exec_lo, s3
	v_or_b32_e32 v1, 0x300, v0
	s_delay_alu instid0(VALU_DEP_1)
	v_cmp_gt_u32_e64 s3, s10, v1
	s_and_saveexec_b32 s4, s3
	;; [unrolled: 10-line block ×6, first 2 shown]
	s_cbranch_execz .LBB9_160
; %bb.159:
	global_load_b32 v9, v0, s[8:9] offset:7168 scale_offset
.LBB9_160:
	s_wait_xcnt 0x0
	s_or_b32 exec_lo, exec_lo, s11
	s_wait_loadcnt 0x0
	v_add_f32_e32 v1, v2, v3
	s_delay_alu instid0(VALU_DEP_1) | instskip(NEXT) | instid1(VALU_DEP_1)
	v_cndmask_b32_e32 v1, v2, v1, vcc_lo
	v_add_f32_e32 v2, v4, v1
	s_delay_alu instid0(VALU_DEP_1) | instskip(NEXT) | instid1(VALU_DEP_1)
	v_cndmask_b32_e64 v1, v1, v2, s2
	v_add_f32_e32 v2, v5, v1
	s_delay_alu instid0(VALU_DEP_1) | instskip(SKIP_1) | instid1(VALU_DEP_1)
	v_cndmask_b32_e64 v1, v1, v2, s3
	s_min_u32 s3, s10, 0x100
	v_add_f32_e32 v2, v6, v1
	s_delay_alu instid0(VALU_DEP_1) | instskip(NEXT) | instid1(VALU_DEP_1)
	v_cndmask_b32_e64 v1, v1, v2, s4
	v_add_f32_e32 v2, v7, v1
	s_delay_alu instid0(VALU_DEP_1) | instskip(SKIP_1) | instid1(VALU_DEP_2)
	v_cndmask_b32_e64 v1, v1, v2, s5
	v_mbcnt_lo_u32_b32 v2, -1, 0
	v_add_f32_e32 v3, v8, v1
	s_delay_alu instid0(VALU_DEP_2) | instskip(SKIP_2) | instid1(VALU_DEP_4)
	v_cmp_ne_u32_e32 vcc_lo, 31, v2
	v_add_nc_u32_e32 v6, 1, v2
	v_cmp_gt_u32_e64 s2, 28, v2
	v_dual_add_nc_u32 v7, 2, v2 :: v_dual_cndmask_b32 v1, v1, v3, s6
	v_add_co_ci_u32_e64 v3, null, 0, v2, vcc_lo
	v_cmp_gt_u32_e32 vcc_lo, 30, v2
	s_delay_alu instid0(VALU_DEP_2) | instskip(SKIP_1) | instid1(VALU_DEP_2)
	v_dual_add_f32 v4, v9, v1 :: v_dual_lshlrev_b32 v3, 2, v3
	v_cndmask_b32_e64 v5, 0, 2, vcc_lo
	v_cndmask_b32_e64 v1, v1, v4, s7
	v_and_b32_e32 v4, 0xe0, v0
	s_delay_alu instid0(VALU_DEP_3) | instskip(SKIP_2) | instid1(VALU_DEP_1)
	v_add_lshl_u32 v5, v5, v2, 2
	ds_bpermute_b32 v3, v3, v1
	v_sub_nc_u32_e64 v4, s3, v4 clamp
	v_cmp_lt_u32_e32 vcc_lo, v6, v4
	v_cndmask_b32_e64 v6, 0, 4, s2
	v_cmp_lt_u32_e64 s2, v7, v4
	v_add_nc_u32_e32 v7, 4, v2
	s_delay_alu instid0(VALU_DEP_3) | instskip(SKIP_2) | instid1(VALU_DEP_1)
	v_add_lshl_u32 v6, v6, v2, 2
	s_wait_dscnt 0x0
	v_add_f32_e32 v3, v1, v3
	v_cndmask_b32_e32 v3, v1, v3, vcc_lo
	ds_bpermute_b32 v5, v5, v3
	s_wait_dscnt 0x0
	v_add_f32_e32 v5, v3, v5
	s_delay_alu instid0(VALU_DEP_1)
	v_cndmask_b32_e64 v3, v3, v5, s2
	v_cmp_gt_u32_e64 s2, 24, v2
	ds_bpermute_b32 v5, v6, v3
	v_cndmask_b32_e64 v6, 0, 8, s2
	v_cmp_lt_u32_e64 s2, v7, v4
	v_add_nc_u32_e32 v7, 8, v2
	s_delay_alu instid0(VALU_DEP_3) | instskip(SKIP_2) | instid1(VALU_DEP_1)
	v_add_lshl_u32 v6, v6, v2, 2
	s_wait_dscnt 0x0
	v_add_f32_e32 v5, v3, v5
	v_dual_cndmask_b32 v5, v3, v5, s2 :: v_dual_lshlrev_b32 v3, 2, v2
	v_cmp_lt_u32_e64 s2, v7, v4
	s_delay_alu instid0(VALU_DEP_2) | instskip(SKIP_3) | instid1(VALU_DEP_1)
	v_dual_add_nc_u32 v7, 16, v2 :: v_dual_bitop2_b32 v8, 64, v3 bitop3:0x54
	ds_bpermute_b32 v6, v6, v5
	s_wait_dscnt 0x0
	v_add_f32_e32 v6, v5, v6
	v_cndmask_b32_e64 v5, v5, v6, s2
	v_cmp_lt_u32_e64 s2, v7, v4
	ds_bpermute_b32 v6, v8, v5
	s_wait_dscnt 0x0
	v_add_f32_e32 v6, v5, v6
	s_delay_alu instid0(VALU_DEP_1) | instskip(SKIP_1) | instid1(VALU_DEP_1)
	v_cndmask_b32_e64 v4, v5, v6, s2
	s_mov_b32 s2, exec_lo
	v_cndmask_b32_e32 v1, v1, v4, vcc_lo
	v_cmpx_eq_u32_e32 0, v2
; %bb.161:
	v_lshrrev_b32_e32 v4, 3, v0
	s_delay_alu instid0(VALU_DEP_1)
	v_and_b32_e32 v4, 28, v4
	ds_store_b32 v4, v1 offset:192
; %bb.162:
	s_or_b32 exec_lo, exec_lo, s2
	s_delay_alu instid0(SALU_CYCLE_1)
	s_mov_b32 s4, exec_lo
	s_wait_dscnt 0x0
	s_barrier_signal -1
	s_barrier_wait -1
	v_cmpx_gt_u32_e32 8, v0
	s_cbranch_execz .LBB9_164
; %bb.163:
	ds_load_b32 v1, v3 offset:192
	v_and_b32_e32 v4, 7, v2
	s_add_co_i32 s3, s3, 31
	v_or_b32_e32 v3, 16, v3
	s_lshr_b32 s3, s3, 5
	s_delay_alu instid0(VALU_DEP_2) | instskip(SKIP_1) | instid1(VALU_DEP_1)
	v_cmp_ne_u32_e32 vcc_lo, 7, v4
	v_add_co_ci_u32_e64 v5, null, 0, v2, vcc_lo
	v_lshlrev_b32_e32 v5, 2, v5
	v_cmp_gt_u32_e32 vcc_lo, 6, v4
	s_wait_dscnt 0x0
	ds_bpermute_b32 v5, v5, v1
	v_add_nc_u32_e32 v7, 1, v4
	v_cndmask_b32_e64 v6, 0, 2, vcc_lo
	s_delay_alu instid0(VALU_DEP_1) | instskip(SKIP_1) | instid1(VALU_DEP_1)
	v_add_lshl_u32 v2, v6, v2, 2
	v_dual_add_nc_u32 v6, 2, v4 :: v_dual_add_nc_u32 v4, 4, v4
	v_cmp_gt_u32_e64 s2, s3, v6
	s_wait_dscnt 0x0
	v_add_f32_e32 v5, v1, v5
	v_cmp_gt_u32_e32 vcc_lo, s3, v7
	s_delay_alu instid0(VALU_DEP_2) | instskip(SKIP_3) | instid1(VALU_DEP_1)
	v_cndmask_b32_e32 v5, v1, v5, vcc_lo
	ds_bpermute_b32 v2, v2, v5
	s_wait_dscnt 0x0
	v_add_f32_e32 v2, v5, v2
	v_cndmask_b32_e64 v2, v5, v2, s2
	v_cmp_gt_u32_e64 s2, s3, v4
	ds_bpermute_b32 v3, v3, v2
	s_wait_dscnt 0x0
	v_add_f32_e32 v3, v2, v3
	s_delay_alu instid0(VALU_DEP_1) | instskip(NEXT) | instid1(VALU_DEP_1)
	v_cndmask_b32_e64 v2, v2, v3, s2
	v_cndmask_b32_e32 v1, v1, v2, vcc_lo
.LBB9_164:
	s_or_b32 exec_lo, exec_lo, s4
.LBB9_165:
	v_cmp_eq_u32_e64 s2, 0, v0
	s_branch .LBB9_224
.LBB9_166:
	s_cmp_gt_i32 s33, 1
	s_cbranch_scc0 .LBB9_175
; %bb.167:
	s_cmp_gt_i32 s33, 3
	s_cbranch_scc0 .LBB9_176
; %bb.168:
	s_cmp_eq_u32 s33, 4
	s_cbranch_scc0 .LBB9_177
; %bb.169:
	s_bfe_u32 s2, ttmp6, 0x4000c
	s_and_b32 s3, ttmp6, 15
	s_add_co_i32 s2, s2, 1
	s_getreg_b32 s4, hwreg(HW_REG_IB_STS2, 6, 4)
	s_mul_i32 s2, ttmp9, s2
	s_mov_b32 s35, 0
	s_add_co_i32 s3, s3, s2
	s_cmp_eq_u32 s4, 0
	s_cselect_b32 s34, ttmp9, s3
	s_mov_b32 s3, s35
	s_lshl_b32 s2, s34, 10
	s_lshr_b64 s[4:5], s[38:39], 10
	s_lshl_b64 s[6:7], s[2:3], 2
	s_cmp_lg_u64 s[4:5], s[34:35]
	s_add_nc_u64 s[4:5], s[36:37], s[6:7]
	s_cbranch_scc0 .LBB9_179
; %bb.170:
	s_clause 0x3
	global_load_b32 v1, v0, s[4:5] scale_offset
	global_load_b32 v2, v0, s[4:5] offset:1024 scale_offset
	global_load_b32 v3, v0, s[4:5] offset:2048 scale_offset
	;; [unrolled: 1-line block ×3, first 2 shown]
	s_mov_b32 s3, exec_lo
	s_wait_loadcnt 0x2
	v_add_f32_e32 v1, v1, v2
	s_wait_loadcnt 0x1
	s_delay_alu instid0(VALU_DEP_1) | instskip(SKIP_1) | instid1(VALU_DEP_1)
	v_add_f32_e32 v1, v1, v3
	s_wait_loadcnt 0x0
	v_add_f32_e32 v1, v1, v4
	s_delay_alu instid0(VALU_DEP_1) | instskip(NEXT) | instid1(VALU_DEP_1)
	v_mov_b32_dpp v2, v1 quad_perm:[1,0,3,2] row_mask:0xf bank_mask:0xf
	v_add_f32_e32 v1, v1, v2
	s_delay_alu instid0(VALU_DEP_1) | instskip(NEXT) | instid1(VALU_DEP_1)
	v_mov_b32_dpp v2, v1 quad_perm:[2,3,0,1] row_mask:0xf bank_mask:0xf
	v_add_f32_e32 v1, v1, v2
	s_delay_alu instid0(VALU_DEP_1) | instskip(NEXT) | instid1(VALU_DEP_1)
	v_mov_b32_dpp v2, v1 row_ror:4 row_mask:0xf bank_mask:0xf
	v_add_f32_e32 v1, v1, v2
	s_delay_alu instid0(VALU_DEP_1) | instskip(NEXT) | instid1(VALU_DEP_1)
	v_mov_b32_dpp v2, v1 row_ror:8 row_mask:0xf bank_mask:0xf
	v_add_f32_e32 v1, v1, v2
	ds_swizzle_b32 v2, v1 offset:swizzle(BROADCAST,32,15)
	s_wait_dscnt 0x0
	v_dual_add_f32 v1, v1, v2 :: v_dual_mov_b32 v2, 0
	ds_bpermute_b32 v1, v2, v1 offset:124
	v_mbcnt_lo_u32_b32 v2, -1, 0
	s_delay_alu instid0(VALU_DEP_1)
	v_cmpx_eq_u32_e32 0, v2
	s_cbranch_execz .LBB9_172
; %bb.171:
	v_lshrrev_b32_e32 v3, 3, v0
	s_delay_alu instid0(VALU_DEP_1)
	v_and_b32_e32 v3, 28, v3
	s_wait_dscnt 0x0
	ds_store_b32 v3, v1 offset:128
.LBB9_172:
	s_or_b32 exec_lo, exec_lo, s3
	s_delay_alu instid0(SALU_CYCLE_1)
	s_mov_b32 s3, exec_lo
	s_wait_dscnt 0x0
	s_barrier_signal -1
	s_barrier_wait -1
	v_cmpx_gt_u32_e32 32, v0
	s_cbranch_execz .LBB9_174
; %bb.173:
	v_and_b32_e32 v1, 7, v2
	s_delay_alu instid0(VALU_DEP_1) | instskip(SKIP_1) | instid1(VALU_DEP_1)
	v_cmp_ne_u32_e32 vcc_lo, 7, v1
	v_add_co_ci_u32_e64 v4, null, 0, v2, vcc_lo
	v_lshlrev_b32_e32 v4, 2, v4
	v_cmp_gt_u32_e32 vcc_lo, 6, v1
	v_lshlrev_b32_e32 v3, 2, v1
	v_cndmask_b32_e64 v1, 0, 2, vcc_lo
	s_delay_alu instid0(VALU_DEP_1)
	v_add_lshl_u32 v1, v1, v2, 2
	v_lshlrev_b32_e32 v2, 2, v2
	ds_load_b32 v3, v3 offset:128
	v_or_b32_e32 v2, 16, v2
	s_wait_dscnt 0x0
	ds_bpermute_b32 v4, v4, v3
	s_wait_dscnt 0x0
	v_add_f32_e32 v3, v3, v4
	ds_bpermute_b32 v1, v1, v3
	s_wait_dscnt 0x0
	v_add_f32_e32 v1, v3, v1
	;; [unrolled: 3-line block ×3, first 2 shown]
.LBB9_174:
	s_or_b32 exec_lo, exec_lo, s3
	s_mov_b32 s3, 0
	s_branch .LBB9_180
.LBB9_175:
                                        ; implicit-def: $vgpr1
                                        ; implicit-def: $sgpr34_sgpr35
	s_cbranch_execnz .LBB9_215
	s_branch .LBB9_224
.LBB9_176:
                                        ; implicit-def: $vgpr1
                                        ; implicit-def: $sgpr34_sgpr35
	s_cbranch_execz .LBB9_178
	s_branch .LBB9_195
.LBB9_177:
                                        ; implicit-def: $vgpr1
                                        ; implicit-def: $sgpr34_sgpr35
.LBB9_178:
	s_branch .LBB9_224
.LBB9_179:
	s_mov_b32 s3, -1
                                        ; implicit-def: $vgpr1
.LBB9_180:
	s_delay_alu instid0(SALU_CYCLE_1)
	s_and_b32 vcc_lo, exec_lo, s3
	s_cbranch_vccz .LBB9_194
; %bb.181:
	v_mov_b32_e32 v2, 0
	s_sub_co_i32 s6, s38, s2
	s_mov_b32 s2, exec_lo
	s_delay_alu instid0(VALU_DEP_1)
	v_dual_mov_b32 v3, v2 :: v_dual_mov_b32 v4, v2
	v_mov_b32_e32 v5, v2
	v_cmpx_gt_u32_e64 s6, v0
	s_cbranch_execz .LBB9_183
; %bb.182:
	global_load_b32 v4, v0, s[4:5] scale_offset
	v_dual_mov_b32 v5, v2 :: v_dual_mov_b32 v6, v2
	v_mov_b32_e32 v7, v2
	s_wait_loadcnt 0x0
	s_delay_alu instid0(VALU_DEP_2) | instskip(NEXT) | instid1(VALU_DEP_2)
	v_mov_b64_e32 v[2:3], v[4:5]
	v_mov_b64_e32 v[4:5], v[6:7]
.LBB9_183:
	s_or_b32 exec_lo, exec_lo, s2
	v_or_b32_e32 v1, 0x100, v0
	s_delay_alu instid0(VALU_DEP_1)
	v_cmp_gt_u32_e32 vcc_lo, s6, v1
	s_and_saveexec_b32 s2, vcc_lo
	s_cbranch_execz .LBB9_185
; %bb.184:
	global_load_b32 v3, v0, s[4:5] offset:1024 scale_offset
.LBB9_185:
	s_wait_xcnt 0x0
	s_or_b32 exec_lo, exec_lo, s2
	v_or_b32_e32 v1, 0x200, v0
	s_delay_alu instid0(VALU_DEP_1)
	v_cmp_gt_u32_e64 s2, s6, v1
	s_and_saveexec_b32 s3, s2
	s_cbranch_execz .LBB9_187
; %bb.186:
	global_load_b32 v4, v0, s[4:5] offset:2048 scale_offset
.LBB9_187:
	s_wait_xcnt 0x0
	s_or_b32 exec_lo, exec_lo, s3
	v_or_b32_e32 v1, 0x300, v0
	s_delay_alu instid0(VALU_DEP_1)
	v_cmp_gt_u32_e64 s3, s6, v1
	s_and_saveexec_b32 s7, s3
	s_cbranch_execz .LBB9_189
; %bb.188:
	global_load_b32 v5, v0, s[4:5] offset:3072 scale_offset
.LBB9_189:
	s_wait_xcnt 0x0
	s_or_b32 exec_lo, exec_lo, s7
	s_wait_loadcnt 0x0
	v_add_f32_e32 v1, v2, v3
	s_delay_alu instid0(VALU_DEP_1) | instskip(SKIP_1) | instid1(VALU_DEP_1)
	v_cndmask_b32_e32 v1, v2, v1, vcc_lo
	v_mbcnt_lo_u32_b32 v2, -1, 0
	v_dual_add_f32 v3, v4, v1 :: v_dual_add_nc_u32 v6, 1, v2
	v_cmp_ne_u32_e32 vcc_lo, 31, v2
	s_delay_alu instid0(VALU_DEP_2) | instskip(SKIP_3) | instid1(VALU_DEP_3)
	v_dual_add_nc_u32 v7, 2, v2 :: v_dual_cndmask_b32 v1, v1, v3, s2
	v_add_co_ci_u32_e64 v3, null, 0, v2, vcc_lo
	v_cmp_gt_u32_e32 vcc_lo, 30, v2
	v_cmp_gt_u32_e64 s2, 28, v2
	v_dual_add_f32 v4, v5, v1 :: v_dual_lshlrev_b32 v3, 2, v3
	v_cndmask_b32_e64 v5, 0, 2, vcc_lo
	s_delay_alu instid0(VALU_DEP_2) | instskip(SKIP_2) | instid1(VALU_DEP_3)
	v_cndmask_b32_e64 v1, v1, v4, s3
	v_and_b32_e32 v4, 0xe0, v0
	s_min_u32 s3, s6, 0x100
	v_add_lshl_u32 v5, v5, v2, 2
	ds_bpermute_b32 v3, v3, v1
	v_sub_nc_u32_e64 v4, s3, v4 clamp
	s_delay_alu instid0(VALU_DEP_1) | instskip(SKIP_3) | instid1(VALU_DEP_3)
	v_cmp_lt_u32_e32 vcc_lo, v6, v4
	v_cndmask_b32_e64 v6, 0, 4, s2
	v_cmp_lt_u32_e64 s2, v7, v4
	v_add_nc_u32_e32 v7, 4, v2
	v_add_lshl_u32 v6, v6, v2, 2
	s_wait_dscnt 0x0
	v_add_f32_e32 v3, v1, v3
	s_delay_alu instid0(VALU_DEP_1) | instskip(SKIP_3) | instid1(VALU_DEP_1)
	v_cndmask_b32_e32 v3, v1, v3, vcc_lo
	ds_bpermute_b32 v5, v5, v3
	s_wait_dscnt 0x0
	v_add_f32_e32 v5, v3, v5
	v_cndmask_b32_e64 v3, v3, v5, s2
	v_cmp_gt_u32_e64 s2, 24, v2
	ds_bpermute_b32 v5, v6, v3
	v_cndmask_b32_e64 v6, 0, 8, s2
	v_cmp_lt_u32_e64 s2, v7, v4
	v_add_nc_u32_e32 v7, 8, v2
	s_delay_alu instid0(VALU_DEP_3) | instskip(SKIP_2) | instid1(VALU_DEP_1)
	v_add_lshl_u32 v6, v6, v2, 2
	s_wait_dscnt 0x0
	v_add_f32_e32 v5, v3, v5
	v_dual_cndmask_b32 v5, v3, v5, s2 :: v_dual_lshlrev_b32 v3, 2, v2
	v_cmp_lt_u32_e64 s2, v7, v4
	s_delay_alu instid0(VALU_DEP_2) | instskip(SKIP_3) | instid1(VALU_DEP_1)
	v_dual_add_nc_u32 v7, 16, v2 :: v_dual_bitop2_b32 v8, 64, v3 bitop3:0x54
	ds_bpermute_b32 v6, v6, v5
	s_wait_dscnt 0x0
	v_add_f32_e32 v6, v5, v6
	v_cndmask_b32_e64 v5, v5, v6, s2
	v_cmp_lt_u32_e64 s2, v7, v4
	ds_bpermute_b32 v6, v8, v5
	s_wait_dscnt 0x0
	v_add_f32_e32 v6, v5, v6
	s_delay_alu instid0(VALU_DEP_1) | instskip(SKIP_1) | instid1(VALU_DEP_1)
	v_cndmask_b32_e64 v4, v5, v6, s2
	s_mov_b32 s2, exec_lo
	v_cndmask_b32_e32 v1, v1, v4, vcc_lo
	v_cmpx_eq_u32_e32 0, v2
; %bb.190:
	v_lshrrev_b32_e32 v4, 3, v0
	s_delay_alu instid0(VALU_DEP_1)
	v_and_b32_e32 v4, 28, v4
	ds_store_b32 v4, v1 offset:192
; %bb.191:
	s_or_b32 exec_lo, exec_lo, s2
	s_delay_alu instid0(SALU_CYCLE_1)
	s_mov_b32 s4, exec_lo
	s_wait_dscnt 0x0
	s_barrier_signal -1
	s_barrier_wait -1
	v_cmpx_gt_u32_e32 8, v0
	s_cbranch_execz .LBB9_193
; %bb.192:
	ds_load_b32 v1, v3 offset:192
	v_and_b32_e32 v4, 7, v2
	s_add_co_i32 s3, s3, 31
	v_or_b32_e32 v3, 16, v3
	s_lshr_b32 s3, s3, 5
	s_delay_alu instid0(VALU_DEP_2) | instskip(SKIP_1) | instid1(VALU_DEP_1)
	v_cmp_ne_u32_e32 vcc_lo, 7, v4
	v_add_co_ci_u32_e64 v5, null, 0, v2, vcc_lo
	v_lshlrev_b32_e32 v5, 2, v5
	v_cmp_gt_u32_e32 vcc_lo, 6, v4
	s_wait_dscnt 0x0
	ds_bpermute_b32 v5, v5, v1
	v_add_nc_u32_e32 v7, 1, v4
	v_cndmask_b32_e64 v6, 0, 2, vcc_lo
	s_delay_alu instid0(VALU_DEP_1) | instskip(SKIP_1) | instid1(VALU_DEP_1)
	v_add_lshl_u32 v2, v6, v2, 2
	v_dual_add_nc_u32 v6, 2, v4 :: v_dual_add_nc_u32 v4, 4, v4
	v_cmp_gt_u32_e64 s2, s3, v6
	s_wait_dscnt 0x0
	v_add_f32_e32 v5, v1, v5
	v_cmp_gt_u32_e32 vcc_lo, s3, v7
	s_delay_alu instid0(VALU_DEP_2) | instskip(SKIP_3) | instid1(VALU_DEP_1)
	v_cndmask_b32_e32 v5, v1, v5, vcc_lo
	ds_bpermute_b32 v2, v2, v5
	s_wait_dscnt 0x0
	v_add_f32_e32 v2, v5, v2
	v_cndmask_b32_e64 v2, v5, v2, s2
	v_cmp_gt_u32_e64 s2, s3, v4
	ds_bpermute_b32 v3, v3, v2
	s_wait_dscnt 0x0
	v_add_f32_e32 v3, v2, v3
	s_delay_alu instid0(VALU_DEP_1) | instskip(NEXT) | instid1(VALU_DEP_1)
	v_cndmask_b32_e64 v2, v2, v3, s2
	v_cndmask_b32_e32 v1, v1, v2, vcc_lo
.LBB9_193:
	s_or_b32 exec_lo, exec_lo, s4
.LBB9_194:
	v_cmp_eq_u32_e64 s2, 0, v0
	s_branch .LBB9_178
.LBB9_195:
	s_cmp_eq_u32 s33, 2
	s_cbranch_scc0 .LBB9_202
; %bb.196:
	s_bfe_u32 s2, ttmp6, 0x4000c
	s_and_b32 s3, ttmp6, 15
	s_add_co_i32 s2, s2, 1
	s_getreg_b32 s4, hwreg(HW_REG_IB_STS2, 6, 4)
	s_mul_i32 s2, ttmp9, s2
	s_mov_b32 s35, 0
	s_add_co_i32 s3, s3, s2
	s_cmp_eq_u32 s4, 0
	s_mov_b32 s5, s35
	s_cselect_b32 s34, ttmp9, s3
	s_lshr_b64 s[2:3], s[38:39], 9
	s_lshl_b32 s4, s34, 9
	s_delay_alu instid0(SALU_CYCLE_1)
	s_lshl_b64 s[6:7], s[4:5], 2
	s_cmp_lg_u64 s[2:3], s[34:35]
	s_add_nc_u64 s[2:3], s[36:37], s[6:7]
	s_cbranch_scc0 .LBB9_203
; %bb.197:
	s_clause 0x1
	global_load_b32 v1, v0, s[2:3] scale_offset
	global_load_b32 v2, v0, s[2:3] offset:1024 scale_offset
	s_mov_b32 s5, exec_lo
	s_wait_loadcnt 0x0
	v_add_f32_e32 v1, v1, v2
	s_delay_alu instid0(VALU_DEP_1) | instskip(NEXT) | instid1(VALU_DEP_1)
	v_mov_b32_dpp v2, v1 quad_perm:[1,0,3,2] row_mask:0xf bank_mask:0xf
	v_add_f32_e32 v1, v1, v2
	s_delay_alu instid0(VALU_DEP_1) | instskip(NEXT) | instid1(VALU_DEP_1)
	v_mov_b32_dpp v2, v1 quad_perm:[2,3,0,1] row_mask:0xf bank_mask:0xf
	v_add_f32_e32 v1, v1, v2
	s_delay_alu instid0(VALU_DEP_1) | instskip(NEXT) | instid1(VALU_DEP_1)
	v_mov_b32_dpp v2, v1 row_ror:4 row_mask:0xf bank_mask:0xf
	v_add_f32_e32 v1, v1, v2
	s_delay_alu instid0(VALU_DEP_1) | instskip(NEXT) | instid1(VALU_DEP_1)
	v_mov_b32_dpp v2, v1 row_ror:8 row_mask:0xf bank_mask:0xf
	v_add_f32_e32 v1, v1, v2
	ds_swizzle_b32 v2, v1 offset:swizzle(BROADCAST,32,15)
	s_wait_dscnt 0x0
	v_dual_add_f32 v1, v1, v2 :: v_dual_mov_b32 v2, 0
	ds_bpermute_b32 v1, v2, v1 offset:124
	v_mbcnt_lo_u32_b32 v2, -1, 0
	s_delay_alu instid0(VALU_DEP_1)
	v_cmpx_eq_u32_e32 0, v2
	s_cbranch_execz .LBB9_199
; %bb.198:
	v_lshrrev_b32_e32 v3, 3, v0
	s_delay_alu instid0(VALU_DEP_1)
	v_and_b32_e32 v3, 28, v3
	s_wait_dscnt 0x0
	ds_store_b32 v3, v1 offset:64
.LBB9_199:
	s_or_b32 exec_lo, exec_lo, s5
	s_delay_alu instid0(SALU_CYCLE_1)
	s_mov_b32 s5, exec_lo
	s_wait_dscnt 0x0
	s_barrier_signal -1
	s_barrier_wait -1
	v_cmpx_gt_u32_e32 32, v0
	s_cbranch_execz .LBB9_201
; %bb.200:
	v_and_b32_e32 v1, 7, v2
	s_delay_alu instid0(VALU_DEP_1) | instskip(SKIP_1) | instid1(VALU_DEP_1)
	v_cmp_ne_u32_e32 vcc_lo, 7, v1
	v_add_co_ci_u32_e64 v4, null, 0, v2, vcc_lo
	v_lshlrev_b32_e32 v4, 2, v4
	v_cmp_gt_u32_e32 vcc_lo, 6, v1
	v_lshlrev_b32_e32 v3, 2, v1
	v_cndmask_b32_e64 v1, 0, 2, vcc_lo
	s_delay_alu instid0(VALU_DEP_1)
	v_add_lshl_u32 v1, v1, v2, 2
	v_lshlrev_b32_e32 v2, 2, v2
	ds_load_b32 v3, v3 offset:64
	v_or_b32_e32 v2, 16, v2
	s_wait_dscnt 0x0
	ds_bpermute_b32 v4, v4, v3
	s_wait_dscnt 0x0
	v_add_f32_e32 v3, v3, v4
	ds_bpermute_b32 v1, v1, v3
	s_wait_dscnt 0x0
	v_add_f32_e32 v1, v3, v1
	;; [unrolled: 3-line block ×3, first 2 shown]
.LBB9_201:
	s_or_b32 exec_lo, exec_lo, s5
	s_mov_b32 s5, 0
	s_branch .LBB9_204
.LBB9_202:
                                        ; implicit-def: $vgpr1
                                        ; implicit-def: $sgpr34_sgpr35
	s_branch .LBB9_224
.LBB9_203:
	s_mov_b32 s5, -1
                                        ; implicit-def: $vgpr1
.LBB9_204:
	s_delay_alu instid0(SALU_CYCLE_1)
	s_and_b32 vcc_lo, exec_lo, s5
	s_cbranch_vccz .LBB9_214
; %bb.205:
	v_mov_b64_e32 v[2:3], 0
	s_sub_co_i32 s4, s38, s4
	s_mov_b32 s5, exec_lo
	v_cmpx_gt_u32_e64 s4, v0
	s_cbranch_execz .LBB9_207
; %bb.206:
	global_load_b32 v2, v0, s[2:3] scale_offset
	v_mov_b32_e32 v3, 0
.LBB9_207:
	s_wait_xcnt 0x0
	s_or_b32 exec_lo, exec_lo, s5
	v_or_b32_e32 v1, 0x100, v0
	s_delay_alu instid0(VALU_DEP_1)
	v_cmp_gt_u32_e32 vcc_lo, s4, v1
	s_and_saveexec_b32 s5, vcc_lo
	s_cbranch_execz .LBB9_209
; %bb.208:
	global_load_b32 v3, v0, s[2:3] offset:1024 scale_offset
.LBB9_209:
	s_wait_xcnt 0x0
	s_or_b32 exec_lo, exec_lo, s5
	v_mbcnt_lo_u32_b32 v4, -1, 0
	s_wait_loadcnt 0x0
	v_add_f32_e32 v1, v3, v2
	s_min_u32 s3, s4, 0x100
	s_delay_alu instid0(VALU_DEP_2) | instskip(NEXT) | instid1(VALU_DEP_2)
	v_cmp_ne_u32_e64 s2, 31, v4
	v_dual_cndmask_b32 v1, v2, v1 :: v_dual_add_nc_u32 v6, 1, v4
	v_cmp_gt_u32_e32 vcc_lo, 30, v4
	v_add_nc_u32_e32 v7, 2, v4
	s_delay_alu instid0(VALU_DEP_4) | instskip(SKIP_2) | instid1(VALU_DEP_3)
	v_add_co_ci_u32_e64 v3, null, 0, v4, s2
	v_cmp_gt_u32_e64 s2, 28, v4
	v_cndmask_b32_e64 v5, 0, 2, vcc_lo
	v_lshlrev_b32_e32 v2, 2, v3
	v_and_b32_e32 v3, 0xe0, v0
	s_delay_alu instid0(VALU_DEP_3) | instskip(SKIP_2) | instid1(VALU_DEP_1)
	v_add_lshl_u32 v5, v5, v4, 2
	ds_bpermute_b32 v2, v2, v1
	v_sub_nc_u32_e64 v3, s3, v3 clamp
	v_cmp_lt_u32_e32 vcc_lo, v6, v3
	v_cndmask_b32_e64 v6, 0, 4, s2
	v_cmp_lt_u32_e64 s2, v7, v3
	v_add_nc_u32_e32 v7, 4, v4
	s_delay_alu instid0(VALU_DEP_3) | instskip(SKIP_2) | instid1(VALU_DEP_1)
	v_add_lshl_u32 v6, v6, v4, 2
	s_wait_dscnt 0x0
	v_add_f32_e32 v2, v1, v2
	v_cndmask_b32_e32 v2, v1, v2, vcc_lo
	ds_bpermute_b32 v5, v5, v2
	s_wait_dscnt 0x0
	v_add_f32_e32 v5, v2, v5
	s_delay_alu instid0(VALU_DEP_1)
	v_cndmask_b32_e64 v2, v2, v5, s2
	v_cmp_gt_u32_e64 s2, 24, v4
	ds_bpermute_b32 v5, v6, v2
	v_cndmask_b32_e64 v6, 0, 8, s2
	v_cmp_lt_u32_e64 s2, v7, v3
	v_add_nc_u32_e32 v7, 8, v4
	s_delay_alu instid0(VALU_DEP_3) | instskip(SKIP_2) | instid1(VALU_DEP_1)
	v_add_lshl_u32 v6, v6, v4, 2
	s_wait_dscnt 0x0
	v_add_f32_e32 v5, v2, v5
	v_cndmask_b32_e64 v5, v2, v5, s2
	v_cmp_lt_u32_e64 s2, v7, v3
	v_dual_add_nc_u32 v7, 16, v4 :: v_dual_lshlrev_b32 v2, 2, v4
	ds_bpermute_b32 v6, v6, v5
	v_or_b32_e32 v8, 64, v2
	s_wait_dscnt 0x0
	v_add_f32_e32 v6, v5, v6
	s_delay_alu instid0(VALU_DEP_1) | instskip(SKIP_4) | instid1(VALU_DEP_1)
	v_cndmask_b32_e64 v5, v5, v6, s2
	v_cmp_lt_u32_e64 s2, v7, v3
	ds_bpermute_b32 v6, v8, v5
	s_wait_dscnt 0x0
	v_add_f32_e32 v6, v5, v6
	v_cndmask_b32_e64 v3, v5, v6, s2
	s_mov_b32 s2, exec_lo
	s_delay_alu instid0(VALU_DEP_1)
	v_cndmask_b32_e32 v1, v1, v3, vcc_lo
	v_cmpx_eq_u32_e32 0, v4
; %bb.210:
	v_lshrrev_b32_e32 v3, 3, v0
	s_delay_alu instid0(VALU_DEP_1)
	v_and_b32_e32 v3, 28, v3
	ds_store_b32 v3, v1 offset:192
; %bb.211:
	s_or_b32 exec_lo, exec_lo, s2
	s_delay_alu instid0(SALU_CYCLE_1)
	s_mov_b32 s4, exec_lo
	s_wait_dscnt 0x0
	s_barrier_signal -1
	s_barrier_wait -1
	v_cmpx_gt_u32_e32 8, v0
	s_cbranch_execz .LBB9_213
; %bb.212:
	ds_load_b32 v1, v2 offset:192
	v_and_b32_e32 v3, 7, v4
	s_add_co_i32 s3, s3, 31
	v_or_b32_e32 v2, 16, v2
	s_lshr_b32 s3, s3, 5
	s_delay_alu instid0(VALU_DEP_2) | instskip(SKIP_1) | instid1(VALU_DEP_1)
	v_cmp_ne_u32_e32 vcc_lo, 7, v3
	v_add_co_ci_u32_e64 v5, null, 0, v4, vcc_lo
	v_lshlrev_b32_e32 v5, 2, v5
	v_cmp_gt_u32_e32 vcc_lo, 6, v3
	s_wait_dscnt 0x0
	ds_bpermute_b32 v5, v5, v1
	v_add_nc_u32_e32 v7, 1, v3
	v_cndmask_b32_e64 v6, 0, 2, vcc_lo
	s_delay_alu instid0(VALU_DEP_1) | instskip(SKIP_1) | instid1(VALU_DEP_1)
	v_add_lshl_u32 v4, v6, v4, 2
	v_dual_add_nc_u32 v6, 2, v3 :: v_dual_add_nc_u32 v3, 4, v3
	v_cmp_gt_u32_e64 s2, s3, v6
	s_wait_dscnt 0x0
	v_add_f32_e32 v5, v1, v5
	v_cmp_gt_u32_e32 vcc_lo, s3, v7
	s_delay_alu instid0(VALU_DEP_2) | instskip(SKIP_3) | instid1(VALU_DEP_1)
	v_cndmask_b32_e32 v5, v1, v5, vcc_lo
	ds_bpermute_b32 v4, v4, v5
	s_wait_dscnt 0x0
	v_add_f32_e32 v4, v5, v4
	v_cndmask_b32_e64 v4, v5, v4, s2
	v_cmp_gt_u32_e64 s2, s3, v3
	ds_bpermute_b32 v2, v2, v4
	s_wait_dscnt 0x0
	v_add_f32_e32 v2, v4, v2
	s_delay_alu instid0(VALU_DEP_1) | instskip(NEXT) | instid1(VALU_DEP_1)
	v_cndmask_b32_e64 v2, v4, v2, s2
	v_cndmask_b32_e32 v1, v1, v2, vcc_lo
.LBB9_213:
	s_or_b32 exec_lo, exec_lo, s4
.LBB9_214:
	v_cmp_eq_u32_e64 s2, 0, v0
	s_branch .LBB9_224
.LBB9_215:
	s_cmp_eq_u32 s33, 1
	s_cbranch_scc0 .LBB9_223
; %bb.216:
	s_bfe_u32 s2, ttmp6, 0x4000c
	s_and_b32 s4, ttmp6, 15
	s_add_co_i32 s2, s2, 1
	s_getreg_b32 s5, hwreg(HW_REG_IB_STS2, 6, 4)
	s_mul_i32 s2, ttmp9, s2
	s_mov_b32 s3, 0
	s_add_co_i32 s4, s4, s2
	s_cmp_eq_u32 s5, 0
	v_mbcnt_lo_u32_b32 v2, -1, 0
	s_cselect_b32 s34, ttmp9, s4
	s_mov_b32 s35, s3
	s_lshr_b64 s[4:5], s[38:39], 8
	s_lshl_b32 s2, s34, 8
	s_cmp_lg_u64 s[4:5], s[34:35]
	s_cbranch_scc0 .LBB9_227
; %bb.217:
	s_lshl_b64 s[4:5], s[2:3], 2
	s_delay_alu instid0(SALU_CYCLE_1)
	s_add_nc_u64 s[4:5], s[36:37], s[4:5]
	global_load_b32 v1, v0, s[4:5] scale_offset
	s_wait_xcnt 0x0
	s_mov_b32 s4, exec_lo
	s_wait_loadcnt 0x0
	v_mov_b32_dpp v3, v1 quad_perm:[1,0,3,2] row_mask:0xf bank_mask:0xf
	s_delay_alu instid0(VALU_DEP_1) | instskip(NEXT) | instid1(VALU_DEP_1)
	v_add_f32_e32 v1, v1, v3
	v_mov_b32_dpp v3, v1 quad_perm:[2,3,0,1] row_mask:0xf bank_mask:0xf
	s_delay_alu instid0(VALU_DEP_1) | instskip(NEXT) | instid1(VALU_DEP_1)
	v_add_f32_e32 v1, v1, v3
	v_mov_b32_dpp v3, v1 row_ror:4 row_mask:0xf bank_mask:0xf
	s_delay_alu instid0(VALU_DEP_1) | instskip(NEXT) | instid1(VALU_DEP_1)
	v_add_f32_e32 v1, v1, v3
	v_mov_b32_dpp v3, v1 row_ror:8 row_mask:0xf bank_mask:0xf
	s_delay_alu instid0(VALU_DEP_1)
	v_add_f32_e32 v1, v1, v3
	ds_swizzle_b32 v3, v1 offset:swizzle(BROADCAST,32,15)
	s_wait_dscnt 0x0
	v_dual_add_f32 v1, v1, v3 :: v_dual_mov_b32 v3, 0
	ds_bpermute_b32 v1, v3, v1 offset:124
	v_cmpx_eq_u32_e32 0, v2
	s_cbranch_execz .LBB9_219
; %bb.218:
	v_lshrrev_b32_e32 v3, 3, v0
	s_delay_alu instid0(VALU_DEP_1)
	v_and_b32_e32 v3, 28, v3
	s_wait_dscnt 0x0
	ds_store_b32 v3, v1 offset:32
.LBB9_219:
	s_or_b32 exec_lo, exec_lo, s4
	s_delay_alu instid0(SALU_CYCLE_1)
	s_mov_b32 s4, exec_lo
	s_wait_dscnt 0x0
	s_barrier_signal -1
	s_barrier_wait -1
	v_cmpx_gt_u32_e32 32, v0
	s_cbranch_execz .LBB9_221
; %bb.220:
	v_and_b32_e32 v1, 7, v2
	s_delay_alu instid0(VALU_DEP_1) | instskip(SKIP_1) | instid1(VALU_DEP_1)
	v_cmp_ne_u32_e32 vcc_lo, 7, v1
	v_add_co_ci_u32_e64 v4, null, 0, v2, vcc_lo
	v_dual_lshlrev_b32 v4, 2, v4 :: v_dual_lshlrev_b32 v3, 2, v1
	v_cmp_gt_u32_e32 vcc_lo, 6, v1
	ds_load_b32 v3, v3 offset:32
	v_cndmask_b32_e64 v1, 0, 2, vcc_lo
	s_delay_alu instid0(VALU_DEP_1)
	v_add_lshl_u32 v1, v1, v2, 2
	s_wait_dscnt 0x0
	ds_bpermute_b32 v4, v4, v3
	s_wait_dscnt 0x0
	v_dual_add_f32 v3, v3, v4 :: v_dual_lshlrev_b32 v4, 2, v2
	ds_bpermute_b32 v1, v1, v3
	s_wait_dscnt 0x0
	v_dual_add_f32 v1, v3, v1 :: v_dual_bitop2_b32 v3, 16, v4 bitop3:0x54
	ds_bpermute_b32 v3, v3, v1
	s_wait_dscnt 0x0
	v_add_f32_e32 v1, v1, v3
.LBB9_221:
	s_or_b32 exec_lo, exec_lo, s4
.LBB9_222:
	v_cmp_eq_u32_e64 s2, 0, v0
	s_and_saveexec_b32 s3, s2
	s_cbranch_execnz .LBB9_225
	s_branch .LBB9_226
.LBB9_223:
                                        ; implicit-def: $vgpr1
                                        ; implicit-def: $sgpr34_sgpr35
.LBB9_224:
	s_delay_alu instid0(VALU_DEP_1)
	s_and_saveexec_b32 s3, s2
	s_cbranch_execz .LBB9_226
.LBB9_225:
	s_load_b96 s[4:6], s[0:1], 0x18
	s_wait_xcnt 0x0
	s_lshl_b64 s[0:1], s[34:35], 2
	s_cmp_eq_u64 s[38:39], 0
	s_cselect_b32 s2, -1, 0
	s_wait_kmcnt 0x0
	v_dual_add_f32 v0, s6, v1 :: v_dual_mov_b32 v1, 0
	s_add_nc_u64 s[0:1], s[4:5], s[0:1]
	s_delay_alu instid0(VALU_DEP_1)
	v_cndmask_b32_e64 v0, v0, s6, s2
	global_store_b32 v1, v0, s[0:1]
.LBB9_226:
	s_endpgm
.LBB9_227:
                                        ; implicit-def: $vgpr1
	s_cbranch_execz .LBB9_222
; %bb.228:
	s_sub_co_i32 s4, s38, s2
	s_mov_b32 s5, exec_lo
                                        ; implicit-def: $vgpr1
	v_cmpx_gt_u32_e64 s4, v0
	s_cbranch_execz .LBB9_230
; %bb.229:
	s_lshl_b64 s[2:3], s[2:3], 2
	s_delay_alu instid0(SALU_CYCLE_1)
	s_add_nc_u64 s[2:3], s[36:37], s[2:3]
	global_load_b32 v1, v0, s[2:3] scale_offset
.LBB9_230:
	s_wait_xcnt 0x0
	s_or_b32 exec_lo, exec_lo, s5
	v_cmp_ne_u32_e32 vcc_lo, 31, v2
	v_and_b32_e32 v4, 0xe0, v0
	s_min_u32 s3, s4, 0x100
	v_cmp_gt_u32_e64 s2, 28, v2
	v_add_nc_u32_e32 v5, 1, v2
	v_add_co_ci_u32_e64 v3, null, 0, v2, vcc_lo
	v_cmp_gt_u32_e32 vcc_lo, 30, v2
	v_sub_nc_u32_e64 v4, s3, v4 clamp
	s_delay_alu instid0(VALU_DEP_3) | instskip(SKIP_1) | instid1(VALU_DEP_3)
	v_dual_add_nc_u32 v7, 2, v2 :: v_dual_lshlrev_b32 v3, 2, v3
	v_cndmask_b32_e64 v6, 0, 2, vcc_lo
	v_cmp_lt_u32_e32 vcc_lo, v5, v4
	s_wait_loadcnt 0x0
	ds_bpermute_b32 v3, v3, v1
	v_add_lshl_u32 v6, v6, v2, 2
	s_wait_dscnt 0x0
	v_add_f32_e32 v3, v1, v3
	s_delay_alu instid0(VALU_DEP_1) | instskip(SKIP_4) | instid1(VALU_DEP_3)
	v_cndmask_b32_e32 v3, v1, v3, vcc_lo
	ds_bpermute_b32 v5, v6, v3
	v_cndmask_b32_e64 v6, 0, 4, s2
	v_cmp_lt_u32_e64 s2, v7, v4
	v_add_nc_u32_e32 v7, 4, v2
	v_add_lshl_u32 v6, v6, v2, 2
	s_wait_dscnt 0x0
	v_add_f32_e32 v5, v3, v5
	s_delay_alu instid0(VALU_DEP_1)
	v_cndmask_b32_e64 v3, v3, v5, s2
	v_cmp_gt_u32_e64 s2, 24, v2
	ds_bpermute_b32 v5, v6, v3
	v_cndmask_b32_e64 v6, 0, 8, s2
	v_cmp_lt_u32_e64 s2, v7, v4
	v_add_nc_u32_e32 v7, 8, v2
	s_delay_alu instid0(VALU_DEP_3) | instskip(SKIP_2) | instid1(VALU_DEP_1)
	v_add_lshl_u32 v6, v6, v2, 2
	s_wait_dscnt 0x0
	v_add_f32_e32 v5, v3, v5
	v_cndmask_b32_e64 v5, v3, v5, s2
	v_cmp_lt_u32_e64 s2, v7, v4
	v_dual_add_nc_u32 v7, 16, v2 :: v_dual_lshlrev_b32 v3, 2, v2
	ds_bpermute_b32 v6, v6, v5
	s_wait_dscnt 0x0
	v_dual_add_f32 v6, v5, v6 :: v_dual_bitop2_b32 v8, 64, v3 bitop3:0x54
	s_delay_alu instid0(VALU_DEP_1) | instskip(SKIP_4) | instid1(VALU_DEP_1)
	v_cndmask_b32_e64 v5, v5, v6, s2
	v_cmp_lt_u32_e64 s2, v7, v4
	ds_bpermute_b32 v6, v8, v5
	s_wait_dscnt 0x0
	v_add_f32_e32 v6, v5, v6
	v_cndmask_b32_e64 v4, v5, v6, s2
	s_mov_b32 s2, exec_lo
	s_delay_alu instid0(VALU_DEP_1)
	v_cndmask_b32_e32 v1, v1, v4, vcc_lo
	v_cmpx_eq_u32_e32 0, v2
; %bb.231:
	v_lshrrev_b32_e32 v4, 3, v0
	s_delay_alu instid0(VALU_DEP_1)
	v_and_b32_e32 v4, 28, v4
	ds_store_b32 v4, v1 offset:192
; %bb.232:
	s_or_b32 exec_lo, exec_lo, s2
	s_delay_alu instid0(SALU_CYCLE_1)
	s_mov_b32 s4, exec_lo
	s_wait_dscnt 0x0
	s_barrier_signal -1
	s_barrier_wait -1
	v_cmpx_gt_u32_e32 8, v0
	s_cbranch_execz .LBB9_234
; %bb.233:
	ds_load_b32 v1, v3 offset:192
	v_and_b32_e32 v4, 7, v2
	s_add_co_i32 s3, s3, 31
	v_or_b32_e32 v3, 16, v3
	s_lshr_b32 s3, s3, 5
	s_delay_alu instid0(VALU_DEP_2) | instskip(SKIP_1) | instid1(VALU_DEP_1)
	v_cmp_ne_u32_e32 vcc_lo, 7, v4
	v_add_co_ci_u32_e64 v5, null, 0, v2, vcc_lo
	v_lshlrev_b32_e32 v5, 2, v5
	v_cmp_gt_u32_e32 vcc_lo, 6, v4
	s_wait_dscnt 0x0
	ds_bpermute_b32 v5, v5, v1
	v_add_nc_u32_e32 v7, 1, v4
	v_cndmask_b32_e64 v6, 0, 2, vcc_lo
	s_delay_alu instid0(VALU_DEP_1) | instskip(SKIP_1) | instid1(VALU_DEP_1)
	v_add_lshl_u32 v2, v6, v2, 2
	v_dual_add_nc_u32 v6, 2, v4 :: v_dual_add_nc_u32 v4, 4, v4
	v_cmp_gt_u32_e64 s2, s3, v6
	s_wait_dscnt 0x0
	v_add_f32_e32 v5, v1, v5
	v_cmp_gt_u32_e32 vcc_lo, s3, v7
	s_delay_alu instid0(VALU_DEP_2) | instskip(SKIP_3) | instid1(VALU_DEP_1)
	v_cndmask_b32_e32 v5, v1, v5, vcc_lo
	ds_bpermute_b32 v2, v2, v5
	s_wait_dscnt 0x0
	v_add_f32_e32 v2, v5, v2
	v_cndmask_b32_e64 v2, v5, v2, s2
	v_cmp_gt_u32_e64 s2, s3, v4
	ds_bpermute_b32 v3, v3, v2
	s_wait_dscnt 0x0
	v_add_f32_e32 v3, v2, v3
	s_delay_alu instid0(VALU_DEP_1) | instskip(NEXT) | instid1(VALU_DEP_1)
	v_cndmask_b32_e64 v2, v2, v3, s2
	v_cndmask_b32_e32 v1, v1, v2, vcc_lo
.LBB9_234:
	s_or_b32 exec_lo, exec_lo, s4
	v_cmp_eq_u32_e64 s2, 0, v0
	s_and_saveexec_b32 s3, s2
	s_cbranch_execnz .LBB9_225
	s_branch .LBB9_226
	.section	.rodata,"a",@progbits
	.p2align	6, 0x0
	.amdhsa_kernel _ZN7rocprim17ROCPRIM_400000_NS6detail17trampoline_kernelINS0_14default_configENS1_22reduce_config_selectorIfEEZNS1_11reduce_implILb1ES3_PfS7_fN6thrust23THRUST_200600_302600_NS4plusIfEEEE10hipError_tPvRmT1_T2_T3_mT4_P12ihipStream_tbEUlT_E1_NS1_11comp_targetILNS1_3genE0ELNS1_11target_archE4294967295ELNS1_3gpuE0ELNS1_3repE0EEENS1_30default_config_static_selectorELNS0_4arch9wavefront6targetE0EEEvSF_
		.amdhsa_group_segment_fixed_size 224
		.amdhsa_private_segment_fixed_size 0
		.amdhsa_kernarg_size 40
		.amdhsa_user_sgpr_count 2
		.amdhsa_user_sgpr_dispatch_ptr 0
		.amdhsa_user_sgpr_queue_ptr 0
		.amdhsa_user_sgpr_kernarg_segment_ptr 1
		.amdhsa_user_sgpr_dispatch_id 0
		.amdhsa_user_sgpr_kernarg_preload_length 0
		.amdhsa_user_sgpr_kernarg_preload_offset 0
		.amdhsa_user_sgpr_private_segment_size 0
		.amdhsa_wavefront_size32 1
		.amdhsa_uses_dynamic_stack 0
		.amdhsa_enable_private_segment 0
		.amdhsa_system_sgpr_workgroup_id_x 1
		.amdhsa_system_sgpr_workgroup_id_y 0
		.amdhsa_system_sgpr_workgroup_id_z 0
		.amdhsa_system_sgpr_workgroup_info 0
		.amdhsa_system_vgpr_workitem_id 0
		.amdhsa_next_free_vgpr 36
		.amdhsa_next_free_sgpr 45
		.amdhsa_named_barrier_count 0
		.amdhsa_reserve_vcc 1
		.amdhsa_float_round_mode_32 0
		.amdhsa_float_round_mode_16_64 0
		.amdhsa_float_denorm_mode_32 3
		.amdhsa_float_denorm_mode_16_64 3
		.amdhsa_fp16_overflow 0
		.amdhsa_memory_ordered 1
		.amdhsa_forward_progress 1
		.amdhsa_inst_pref_size 94
		.amdhsa_round_robin_scheduling 0
		.amdhsa_exception_fp_ieee_invalid_op 0
		.amdhsa_exception_fp_denorm_src 0
		.amdhsa_exception_fp_ieee_div_zero 0
		.amdhsa_exception_fp_ieee_overflow 0
		.amdhsa_exception_fp_ieee_underflow 0
		.amdhsa_exception_fp_ieee_inexact 0
		.amdhsa_exception_int_div_zero 0
	.end_amdhsa_kernel
	.section	.text._ZN7rocprim17ROCPRIM_400000_NS6detail17trampoline_kernelINS0_14default_configENS1_22reduce_config_selectorIfEEZNS1_11reduce_implILb1ES3_PfS7_fN6thrust23THRUST_200600_302600_NS4plusIfEEEE10hipError_tPvRmT1_T2_T3_mT4_P12ihipStream_tbEUlT_E1_NS1_11comp_targetILNS1_3genE0ELNS1_11target_archE4294967295ELNS1_3gpuE0ELNS1_3repE0EEENS1_30default_config_static_selectorELNS0_4arch9wavefront6targetE0EEEvSF_,"axG",@progbits,_ZN7rocprim17ROCPRIM_400000_NS6detail17trampoline_kernelINS0_14default_configENS1_22reduce_config_selectorIfEEZNS1_11reduce_implILb1ES3_PfS7_fN6thrust23THRUST_200600_302600_NS4plusIfEEEE10hipError_tPvRmT1_T2_T3_mT4_P12ihipStream_tbEUlT_E1_NS1_11comp_targetILNS1_3genE0ELNS1_11target_archE4294967295ELNS1_3gpuE0ELNS1_3repE0EEENS1_30default_config_static_selectorELNS0_4arch9wavefront6targetE0EEEvSF_,comdat
.Lfunc_end9:
	.size	_ZN7rocprim17ROCPRIM_400000_NS6detail17trampoline_kernelINS0_14default_configENS1_22reduce_config_selectorIfEEZNS1_11reduce_implILb1ES3_PfS7_fN6thrust23THRUST_200600_302600_NS4plusIfEEEE10hipError_tPvRmT1_T2_T3_mT4_P12ihipStream_tbEUlT_E1_NS1_11comp_targetILNS1_3genE0ELNS1_11target_archE4294967295ELNS1_3gpuE0ELNS1_3repE0EEENS1_30default_config_static_selectorELNS0_4arch9wavefront6targetE0EEEvSF_, .Lfunc_end9-_ZN7rocprim17ROCPRIM_400000_NS6detail17trampoline_kernelINS0_14default_configENS1_22reduce_config_selectorIfEEZNS1_11reduce_implILb1ES3_PfS7_fN6thrust23THRUST_200600_302600_NS4plusIfEEEE10hipError_tPvRmT1_T2_T3_mT4_P12ihipStream_tbEUlT_E1_NS1_11comp_targetILNS1_3genE0ELNS1_11target_archE4294967295ELNS1_3gpuE0ELNS1_3repE0EEENS1_30default_config_static_selectorELNS0_4arch9wavefront6targetE0EEEvSF_
                                        ; -- End function
	.set _ZN7rocprim17ROCPRIM_400000_NS6detail17trampoline_kernelINS0_14default_configENS1_22reduce_config_selectorIfEEZNS1_11reduce_implILb1ES3_PfS7_fN6thrust23THRUST_200600_302600_NS4plusIfEEEE10hipError_tPvRmT1_T2_T3_mT4_P12ihipStream_tbEUlT_E1_NS1_11comp_targetILNS1_3genE0ELNS1_11target_archE4294967295ELNS1_3gpuE0ELNS1_3repE0EEENS1_30default_config_static_selectorELNS0_4arch9wavefront6targetE0EEEvSF_.num_vgpr, 36
	.set _ZN7rocprim17ROCPRIM_400000_NS6detail17trampoline_kernelINS0_14default_configENS1_22reduce_config_selectorIfEEZNS1_11reduce_implILb1ES3_PfS7_fN6thrust23THRUST_200600_302600_NS4plusIfEEEE10hipError_tPvRmT1_T2_T3_mT4_P12ihipStream_tbEUlT_E1_NS1_11comp_targetILNS1_3genE0ELNS1_11target_archE4294967295ELNS1_3gpuE0ELNS1_3repE0EEENS1_30default_config_static_selectorELNS0_4arch9wavefront6targetE0EEEvSF_.num_agpr, 0
	.set _ZN7rocprim17ROCPRIM_400000_NS6detail17trampoline_kernelINS0_14default_configENS1_22reduce_config_selectorIfEEZNS1_11reduce_implILb1ES3_PfS7_fN6thrust23THRUST_200600_302600_NS4plusIfEEEE10hipError_tPvRmT1_T2_T3_mT4_P12ihipStream_tbEUlT_E1_NS1_11comp_targetILNS1_3genE0ELNS1_11target_archE4294967295ELNS1_3gpuE0ELNS1_3repE0EEENS1_30default_config_static_selectorELNS0_4arch9wavefront6targetE0EEEvSF_.numbered_sgpr, 45
	.set _ZN7rocprim17ROCPRIM_400000_NS6detail17trampoline_kernelINS0_14default_configENS1_22reduce_config_selectorIfEEZNS1_11reduce_implILb1ES3_PfS7_fN6thrust23THRUST_200600_302600_NS4plusIfEEEE10hipError_tPvRmT1_T2_T3_mT4_P12ihipStream_tbEUlT_E1_NS1_11comp_targetILNS1_3genE0ELNS1_11target_archE4294967295ELNS1_3gpuE0ELNS1_3repE0EEENS1_30default_config_static_selectorELNS0_4arch9wavefront6targetE0EEEvSF_.num_named_barrier, 0
	.set _ZN7rocprim17ROCPRIM_400000_NS6detail17trampoline_kernelINS0_14default_configENS1_22reduce_config_selectorIfEEZNS1_11reduce_implILb1ES3_PfS7_fN6thrust23THRUST_200600_302600_NS4plusIfEEEE10hipError_tPvRmT1_T2_T3_mT4_P12ihipStream_tbEUlT_E1_NS1_11comp_targetILNS1_3genE0ELNS1_11target_archE4294967295ELNS1_3gpuE0ELNS1_3repE0EEENS1_30default_config_static_selectorELNS0_4arch9wavefront6targetE0EEEvSF_.private_seg_size, 0
	.set _ZN7rocprim17ROCPRIM_400000_NS6detail17trampoline_kernelINS0_14default_configENS1_22reduce_config_selectorIfEEZNS1_11reduce_implILb1ES3_PfS7_fN6thrust23THRUST_200600_302600_NS4plusIfEEEE10hipError_tPvRmT1_T2_T3_mT4_P12ihipStream_tbEUlT_E1_NS1_11comp_targetILNS1_3genE0ELNS1_11target_archE4294967295ELNS1_3gpuE0ELNS1_3repE0EEENS1_30default_config_static_selectorELNS0_4arch9wavefront6targetE0EEEvSF_.uses_vcc, 1
	.set _ZN7rocprim17ROCPRIM_400000_NS6detail17trampoline_kernelINS0_14default_configENS1_22reduce_config_selectorIfEEZNS1_11reduce_implILb1ES3_PfS7_fN6thrust23THRUST_200600_302600_NS4plusIfEEEE10hipError_tPvRmT1_T2_T3_mT4_P12ihipStream_tbEUlT_E1_NS1_11comp_targetILNS1_3genE0ELNS1_11target_archE4294967295ELNS1_3gpuE0ELNS1_3repE0EEENS1_30default_config_static_selectorELNS0_4arch9wavefront6targetE0EEEvSF_.uses_flat_scratch, 0
	.set _ZN7rocprim17ROCPRIM_400000_NS6detail17trampoline_kernelINS0_14default_configENS1_22reduce_config_selectorIfEEZNS1_11reduce_implILb1ES3_PfS7_fN6thrust23THRUST_200600_302600_NS4plusIfEEEE10hipError_tPvRmT1_T2_T3_mT4_P12ihipStream_tbEUlT_E1_NS1_11comp_targetILNS1_3genE0ELNS1_11target_archE4294967295ELNS1_3gpuE0ELNS1_3repE0EEENS1_30default_config_static_selectorELNS0_4arch9wavefront6targetE0EEEvSF_.has_dyn_sized_stack, 0
	.set _ZN7rocprim17ROCPRIM_400000_NS6detail17trampoline_kernelINS0_14default_configENS1_22reduce_config_selectorIfEEZNS1_11reduce_implILb1ES3_PfS7_fN6thrust23THRUST_200600_302600_NS4plusIfEEEE10hipError_tPvRmT1_T2_T3_mT4_P12ihipStream_tbEUlT_E1_NS1_11comp_targetILNS1_3genE0ELNS1_11target_archE4294967295ELNS1_3gpuE0ELNS1_3repE0EEENS1_30default_config_static_selectorELNS0_4arch9wavefront6targetE0EEEvSF_.has_recursion, 0
	.set _ZN7rocprim17ROCPRIM_400000_NS6detail17trampoline_kernelINS0_14default_configENS1_22reduce_config_selectorIfEEZNS1_11reduce_implILb1ES3_PfS7_fN6thrust23THRUST_200600_302600_NS4plusIfEEEE10hipError_tPvRmT1_T2_T3_mT4_P12ihipStream_tbEUlT_E1_NS1_11comp_targetILNS1_3genE0ELNS1_11target_archE4294967295ELNS1_3gpuE0ELNS1_3repE0EEENS1_30default_config_static_selectorELNS0_4arch9wavefront6targetE0EEEvSF_.has_indirect_call, 0
	.section	.AMDGPU.csdata,"",@progbits
; Kernel info:
; codeLenInByte = 12032
; TotalNumSgprs: 47
; NumVgprs: 36
; ScratchSize: 0
; MemoryBound: 0
; FloatMode: 240
; IeeeMode: 1
; LDSByteSize: 224 bytes/workgroup (compile time only)
; SGPRBlocks: 0
; VGPRBlocks: 2
; NumSGPRsForWavesPerEU: 47
; NumVGPRsForWavesPerEU: 36
; NamedBarCnt: 0
; Occupancy: 16
; WaveLimiterHint : 1
; COMPUTE_PGM_RSRC2:SCRATCH_EN: 0
; COMPUTE_PGM_RSRC2:USER_SGPR: 2
; COMPUTE_PGM_RSRC2:TRAP_HANDLER: 0
; COMPUTE_PGM_RSRC2:TGID_X_EN: 1
; COMPUTE_PGM_RSRC2:TGID_Y_EN: 0
; COMPUTE_PGM_RSRC2:TGID_Z_EN: 0
; COMPUTE_PGM_RSRC2:TIDIG_COMP_CNT: 0
	.section	.text._ZN7rocprim17ROCPRIM_400000_NS6detail17trampoline_kernelINS0_14default_configENS1_22reduce_config_selectorIfEEZNS1_11reduce_implILb1ES3_PfS7_fN6thrust23THRUST_200600_302600_NS4plusIfEEEE10hipError_tPvRmT1_T2_T3_mT4_P12ihipStream_tbEUlT_E1_NS1_11comp_targetILNS1_3genE5ELNS1_11target_archE942ELNS1_3gpuE9ELNS1_3repE0EEENS1_30default_config_static_selectorELNS0_4arch9wavefront6targetE0EEEvSF_,"axG",@progbits,_ZN7rocprim17ROCPRIM_400000_NS6detail17trampoline_kernelINS0_14default_configENS1_22reduce_config_selectorIfEEZNS1_11reduce_implILb1ES3_PfS7_fN6thrust23THRUST_200600_302600_NS4plusIfEEEE10hipError_tPvRmT1_T2_T3_mT4_P12ihipStream_tbEUlT_E1_NS1_11comp_targetILNS1_3genE5ELNS1_11target_archE942ELNS1_3gpuE9ELNS1_3repE0EEENS1_30default_config_static_selectorELNS0_4arch9wavefront6targetE0EEEvSF_,comdat
	.protected	_ZN7rocprim17ROCPRIM_400000_NS6detail17trampoline_kernelINS0_14default_configENS1_22reduce_config_selectorIfEEZNS1_11reduce_implILb1ES3_PfS7_fN6thrust23THRUST_200600_302600_NS4plusIfEEEE10hipError_tPvRmT1_T2_T3_mT4_P12ihipStream_tbEUlT_E1_NS1_11comp_targetILNS1_3genE5ELNS1_11target_archE942ELNS1_3gpuE9ELNS1_3repE0EEENS1_30default_config_static_selectorELNS0_4arch9wavefront6targetE0EEEvSF_ ; -- Begin function _ZN7rocprim17ROCPRIM_400000_NS6detail17trampoline_kernelINS0_14default_configENS1_22reduce_config_selectorIfEEZNS1_11reduce_implILb1ES3_PfS7_fN6thrust23THRUST_200600_302600_NS4plusIfEEEE10hipError_tPvRmT1_T2_T3_mT4_P12ihipStream_tbEUlT_E1_NS1_11comp_targetILNS1_3genE5ELNS1_11target_archE942ELNS1_3gpuE9ELNS1_3repE0EEENS1_30default_config_static_selectorELNS0_4arch9wavefront6targetE0EEEvSF_
	.globl	_ZN7rocprim17ROCPRIM_400000_NS6detail17trampoline_kernelINS0_14default_configENS1_22reduce_config_selectorIfEEZNS1_11reduce_implILb1ES3_PfS7_fN6thrust23THRUST_200600_302600_NS4plusIfEEEE10hipError_tPvRmT1_T2_T3_mT4_P12ihipStream_tbEUlT_E1_NS1_11comp_targetILNS1_3genE5ELNS1_11target_archE942ELNS1_3gpuE9ELNS1_3repE0EEENS1_30default_config_static_selectorELNS0_4arch9wavefront6targetE0EEEvSF_
	.p2align	8
	.type	_ZN7rocprim17ROCPRIM_400000_NS6detail17trampoline_kernelINS0_14default_configENS1_22reduce_config_selectorIfEEZNS1_11reduce_implILb1ES3_PfS7_fN6thrust23THRUST_200600_302600_NS4plusIfEEEE10hipError_tPvRmT1_T2_T3_mT4_P12ihipStream_tbEUlT_E1_NS1_11comp_targetILNS1_3genE5ELNS1_11target_archE942ELNS1_3gpuE9ELNS1_3repE0EEENS1_30default_config_static_selectorELNS0_4arch9wavefront6targetE0EEEvSF_,@function
_ZN7rocprim17ROCPRIM_400000_NS6detail17trampoline_kernelINS0_14default_configENS1_22reduce_config_selectorIfEEZNS1_11reduce_implILb1ES3_PfS7_fN6thrust23THRUST_200600_302600_NS4plusIfEEEE10hipError_tPvRmT1_T2_T3_mT4_P12ihipStream_tbEUlT_E1_NS1_11comp_targetILNS1_3genE5ELNS1_11target_archE942ELNS1_3gpuE9ELNS1_3repE0EEENS1_30default_config_static_selectorELNS0_4arch9wavefront6targetE0EEEvSF_: ; @_ZN7rocprim17ROCPRIM_400000_NS6detail17trampoline_kernelINS0_14default_configENS1_22reduce_config_selectorIfEEZNS1_11reduce_implILb1ES3_PfS7_fN6thrust23THRUST_200600_302600_NS4plusIfEEEE10hipError_tPvRmT1_T2_T3_mT4_P12ihipStream_tbEUlT_E1_NS1_11comp_targetILNS1_3genE5ELNS1_11target_archE942ELNS1_3gpuE9ELNS1_3repE0EEENS1_30default_config_static_selectorELNS0_4arch9wavefront6targetE0EEEvSF_
; %bb.0:
	.section	.rodata,"a",@progbits
	.p2align	6, 0x0
	.amdhsa_kernel _ZN7rocprim17ROCPRIM_400000_NS6detail17trampoline_kernelINS0_14default_configENS1_22reduce_config_selectorIfEEZNS1_11reduce_implILb1ES3_PfS7_fN6thrust23THRUST_200600_302600_NS4plusIfEEEE10hipError_tPvRmT1_T2_T3_mT4_P12ihipStream_tbEUlT_E1_NS1_11comp_targetILNS1_3genE5ELNS1_11target_archE942ELNS1_3gpuE9ELNS1_3repE0EEENS1_30default_config_static_selectorELNS0_4arch9wavefront6targetE0EEEvSF_
		.amdhsa_group_segment_fixed_size 0
		.amdhsa_private_segment_fixed_size 0
		.amdhsa_kernarg_size 40
		.amdhsa_user_sgpr_count 2
		.amdhsa_user_sgpr_dispatch_ptr 0
		.amdhsa_user_sgpr_queue_ptr 0
		.amdhsa_user_sgpr_kernarg_segment_ptr 1
		.amdhsa_user_sgpr_dispatch_id 0
		.amdhsa_user_sgpr_kernarg_preload_length 0
		.amdhsa_user_sgpr_kernarg_preload_offset 0
		.amdhsa_user_sgpr_private_segment_size 0
		.amdhsa_wavefront_size32 1
		.amdhsa_uses_dynamic_stack 0
		.amdhsa_enable_private_segment 0
		.amdhsa_system_sgpr_workgroup_id_x 1
		.amdhsa_system_sgpr_workgroup_id_y 0
		.amdhsa_system_sgpr_workgroup_id_z 0
		.amdhsa_system_sgpr_workgroup_info 0
		.amdhsa_system_vgpr_workitem_id 0
		.amdhsa_next_free_vgpr 1
		.amdhsa_next_free_sgpr 1
		.amdhsa_named_barrier_count 0
		.amdhsa_reserve_vcc 0
		.amdhsa_float_round_mode_32 0
		.amdhsa_float_round_mode_16_64 0
		.amdhsa_float_denorm_mode_32 3
		.amdhsa_float_denorm_mode_16_64 3
		.amdhsa_fp16_overflow 0
		.amdhsa_memory_ordered 1
		.amdhsa_forward_progress 1
		.amdhsa_inst_pref_size 0
		.amdhsa_round_robin_scheduling 0
		.amdhsa_exception_fp_ieee_invalid_op 0
		.amdhsa_exception_fp_denorm_src 0
		.amdhsa_exception_fp_ieee_div_zero 0
		.amdhsa_exception_fp_ieee_overflow 0
		.amdhsa_exception_fp_ieee_underflow 0
		.amdhsa_exception_fp_ieee_inexact 0
		.amdhsa_exception_int_div_zero 0
	.end_amdhsa_kernel
	.section	.text._ZN7rocprim17ROCPRIM_400000_NS6detail17trampoline_kernelINS0_14default_configENS1_22reduce_config_selectorIfEEZNS1_11reduce_implILb1ES3_PfS7_fN6thrust23THRUST_200600_302600_NS4plusIfEEEE10hipError_tPvRmT1_T2_T3_mT4_P12ihipStream_tbEUlT_E1_NS1_11comp_targetILNS1_3genE5ELNS1_11target_archE942ELNS1_3gpuE9ELNS1_3repE0EEENS1_30default_config_static_selectorELNS0_4arch9wavefront6targetE0EEEvSF_,"axG",@progbits,_ZN7rocprim17ROCPRIM_400000_NS6detail17trampoline_kernelINS0_14default_configENS1_22reduce_config_selectorIfEEZNS1_11reduce_implILb1ES3_PfS7_fN6thrust23THRUST_200600_302600_NS4plusIfEEEE10hipError_tPvRmT1_T2_T3_mT4_P12ihipStream_tbEUlT_E1_NS1_11comp_targetILNS1_3genE5ELNS1_11target_archE942ELNS1_3gpuE9ELNS1_3repE0EEENS1_30default_config_static_selectorELNS0_4arch9wavefront6targetE0EEEvSF_,comdat
.Lfunc_end10:
	.size	_ZN7rocprim17ROCPRIM_400000_NS6detail17trampoline_kernelINS0_14default_configENS1_22reduce_config_selectorIfEEZNS1_11reduce_implILb1ES3_PfS7_fN6thrust23THRUST_200600_302600_NS4plusIfEEEE10hipError_tPvRmT1_T2_T3_mT4_P12ihipStream_tbEUlT_E1_NS1_11comp_targetILNS1_3genE5ELNS1_11target_archE942ELNS1_3gpuE9ELNS1_3repE0EEENS1_30default_config_static_selectorELNS0_4arch9wavefront6targetE0EEEvSF_, .Lfunc_end10-_ZN7rocprim17ROCPRIM_400000_NS6detail17trampoline_kernelINS0_14default_configENS1_22reduce_config_selectorIfEEZNS1_11reduce_implILb1ES3_PfS7_fN6thrust23THRUST_200600_302600_NS4plusIfEEEE10hipError_tPvRmT1_T2_T3_mT4_P12ihipStream_tbEUlT_E1_NS1_11comp_targetILNS1_3genE5ELNS1_11target_archE942ELNS1_3gpuE9ELNS1_3repE0EEENS1_30default_config_static_selectorELNS0_4arch9wavefront6targetE0EEEvSF_
                                        ; -- End function
	.set _ZN7rocprim17ROCPRIM_400000_NS6detail17trampoline_kernelINS0_14default_configENS1_22reduce_config_selectorIfEEZNS1_11reduce_implILb1ES3_PfS7_fN6thrust23THRUST_200600_302600_NS4plusIfEEEE10hipError_tPvRmT1_T2_T3_mT4_P12ihipStream_tbEUlT_E1_NS1_11comp_targetILNS1_3genE5ELNS1_11target_archE942ELNS1_3gpuE9ELNS1_3repE0EEENS1_30default_config_static_selectorELNS0_4arch9wavefront6targetE0EEEvSF_.num_vgpr, 0
	.set _ZN7rocprim17ROCPRIM_400000_NS6detail17trampoline_kernelINS0_14default_configENS1_22reduce_config_selectorIfEEZNS1_11reduce_implILb1ES3_PfS7_fN6thrust23THRUST_200600_302600_NS4plusIfEEEE10hipError_tPvRmT1_T2_T3_mT4_P12ihipStream_tbEUlT_E1_NS1_11comp_targetILNS1_3genE5ELNS1_11target_archE942ELNS1_3gpuE9ELNS1_3repE0EEENS1_30default_config_static_selectorELNS0_4arch9wavefront6targetE0EEEvSF_.num_agpr, 0
	.set _ZN7rocprim17ROCPRIM_400000_NS6detail17trampoline_kernelINS0_14default_configENS1_22reduce_config_selectorIfEEZNS1_11reduce_implILb1ES3_PfS7_fN6thrust23THRUST_200600_302600_NS4plusIfEEEE10hipError_tPvRmT1_T2_T3_mT4_P12ihipStream_tbEUlT_E1_NS1_11comp_targetILNS1_3genE5ELNS1_11target_archE942ELNS1_3gpuE9ELNS1_3repE0EEENS1_30default_config_static_selectorELNS0_4arch9wavefront6targetE0EEEvSF_.numbered_sgpr, 0
	.set _ZN7rocprim17ROCPRIM_400000_NS6detail17trampoline_kernelINS0_14default_configENS1_22reduce_config_selectorIfEEZNS1_11reduce_implILb1ES3_PfS7_fN6thrust23THRUST_200600_302600_NS4plusIfEEEE10hipError_tPvRmT1_T2_T3_mT4_P12ihipStream_tbEUlT_E1_NS1_11comp_targetILNS1_3genE5ELNS1_11target_archE942ELNS1_3gpuE9ELNS1_3repE0EEENS1_30default_config_static_selectorELNS0_4arch9wavefront6targetE0EEEvSF_.num_named_barrier, 0
	.set _ZN7rocprim17ROCPRIM_400000_NS6detail17trampoline_kernelINS0_14default_configENS1_22reduce_config_selectorIfEEZNS1_11reduce_implILb1ES3_PfS7_fN6thrust23THRUST_200600_302600_NS4plusIfEEEE10hipError_tPvRmT1_T2_T3_mT4_P12ihipStream_tbEUlT_E1_NS1_11comp_targetILNS1_3genE5ELNS1_11target_archE942ELNS1_3gpuE9ELNS1_3repE0EEENS1_30default_config_static_selectorELNS0_4arch9wavefront6targetE0EEEvSF_.private_seg_size, 0
	.set _ZN7rocprim17ROCPRIM_400000_NS6detail17trampoline_kernelINS0_14default_configENS1_22reduce_config_selectorIfEEZNS1_11reduce_implILb1ES3_PfS7_fN6thrust23THRUST_200600_302600_NS4plusIfEEEE10hipError_tPvRmT1_T2_T3_mT4_P12ihipStream_tbEUlT_E1_NS1_11comp_targetILNS1_3genE5ELNS1_11target_archE942ELNS1_3gpuE9ELNS1_3repE0EEENS1_30default_config_static_selectorELNS0_4arch9wavefront6targetE0EEEvSF_.uses_vcc, 0
	.set _ZN7rocprim17ROCPRIM_400000_NS6detail17trampoline_kernelINS0_14default_configENS1_22reduce_config_selectorIfEEZNS1_11reduce_implILb1ES3_PfS7_fN6thrust23THRUST_200600_302600_NS4plusIfEEEE10hipError_tPvRmT1_T2_T3_mT4_P12ihipStream_tbEUlT_E1_NS1_11comp_targetILNS1_3genE5ELNS1_11target_archE942ELNS1_3gpuE9ELNS1_3repE0EEENS1_30default_config_static_selectorELNS0_4arch9wavefront6targetE0EEEvSF_.uses_flat_scratch, 0
	.set _ZN7rocprim17ROCPRIM_400000_NS6detail17trampoline_kernelINS0_14default_configENS1_22reduce_config_selectorIfEEZNS1_11reduce_implILb1ES3_PfS7_fN6thrust23THRUST_200600_302600_NS4plusIfEEEE10hipError_tPvRmT1_T2_T3_mT4_P12ihipStream_tbEUlT_E1_NS1_11comp_targetILNS1_3genE5ELNS1_11target_archE942ELNS1_3gpuE9ELNS1_3repE0EEENS1_30default_config_static_selectorELNS0_4arch9wavefront6targetE0EEEvSF_.has_dyn_sized_stack, 0
	.set _ZN7rocprim17ROCPRIM_400000_NS6detail17trampoline_kernelINS0_14default_configENS1_22reduce_config_selectorIfEEZNS1_11reduce_implILb1ES3_PfS7_fN6thrust23THRUST_200600_302600_NS4plusIfEEEE10hipError_tPvRmT1_T2_T3_mT4_P12ihipStream_tbEUlT_E1_NS1_11comp_targetILNS1_3genE5ELNS1_11target_archE942ELNS1_3gpuE9ELNS1_3repE0EEENS1_30default_config_static_selectorELNS0_4arch9wavefront6targetE0EEEvSF_.has_recursion, 0
	.set _ZN7rocprim17ROCPRIM_400000_NS6detail17trampoline_kernelINS0_14default_configENS1_22reduce_config_selectorIfEEZNS1_11reduce_implILb1ES3_PfS7_fN6thrust23THRUST_200600_302600_NS4plusIfEEEE10hipError_tPvRmT1_T2_T3_mT4_P12ihipStream_tbEUlT_E1_NS1_11comp_targetILNS1_3genE5ELNS1_11target_archE942ELNS1_3gpuE9ELNS1_3repE0EEENS1_30default_config_static_selectorELNS0_4arch9wavefront6targetE0EEEvSF_.has_indirect_call, 0
	.section	.AMDGPU.csdata,"",@progbits
; Kernel info:
; codeLenInByte = 0
; TotalNumSgprs: 0
; NumVgprs: 0
; ScratchSize: 0
; MemoryBound: 0
; FloatMode: 240
; IeeeMode: 1
; LDSByteSize: 0 bytes/workgroup (compile time only)
; SGPRBlocks: 0
; VGPRBlocks: 0
; NumSGPRsForWavesPerEU: 1
; NumVGPRsForWavesPerEU: 1
; NamedBarCnt: 0
; Occupancy: 16
; WaveLimiterHint : 0
; COMPUTE_PGM_RSRC2:SCRATCH_EN: 0
; COMPUTE_PGM_RSRC2:USER_SGPR: 2
; COMPUTE_PGM_RSRC2:TRAP_HANDLER: 0
; COMPUTE_PGM_RSRC2:TGID_X_EN: 1
; COMPUTE_PGM_RSRC2:TGID_Y_EN: 0
; COMPUTE_PGM_RSRC2:TGID_Z_EN: 0
; COMPUTE_PGM_RSRC2:TIDIG_COMP_CNT: 0
	.section	.text._ZN7rocprim17ROCPRIM_400000_NS6detail17trampoline_kernelINS0_14default_configENS1_22reduce_config_selectorIfEEZNS1_11reduce_implILb1ES3_PfS7_fN6thrust23THRUST_200600_302600_NS4plusIfEEEE10hipError_tPvRmT1_T2_T3_mT4_P12ihipStream_tbEUlT_E1_NS1_11comp_targetILNS1_3genE4ELNS1_11target_archE910ELNS1_3gpuE8ELNS1_3repE0EEENS1_30default_config_static_selectorELNS0_4arch9wavefront6targetE0EEEvSF_,"axG",@progbits,_ZN7rocprim17ROCPRIM_400000_NS6detail17trampoline_kernelINS0_14default_configENS1_22reduce_config_selectorIfEEZNS1_11reduce_implILb1ES3_PfS7_fN6thrust23THRUST_200600_302600_NS4plusIfEEEE10hipError_tPvRmT1_T2_T3_mT4_P12ihipStream_tbEUlT_E1_NS1_11comp_targetILNS1_3genE4ELNS1_11target_archE910ELNS1_3gpuE8ELNS1_3repE0EEENS1_30default_config_static_selectorELNS0_4arch9wavefront6targetE0EEEvSF_,comdat
	.protected	_ZN7rocprim17ROCPRIM_400000_NS6detail17trampoline_kernelINS0_14default_configENS1_22reduce_config_selectorIfEEZNS1_11reduce_implILb1ES3_PfS7_fN6thrust23THRUST_200600_302600_NS4plusIfEEEE10hipError_tPvRmT1_T2_T3_mT4_P12ihipStream_tbEUlT_E1_NS1_11comp_targetILNS1_3genE4ELNS1_11target_archE910ELNS1_3gpuE8ELNS1_3repE0EEENS1_30default_config_static_selectorELNS0_4arch9wavefront6targetE0EEEvSF_ ; -- Begin function _ZN7rocprim17ROCPRIM_400000_NS6detail17trampoline_kernelINS0_14default_configENS1_22reduce_config_selectorIfEEZNS1_11reduce_implILb1ES3_PfS7_fN6thrust23THRUST_200600_302600_NS4plusIfEEEE10hipError_tPvRmT1_T2_T3_mT4_P12ihipStream_tbEUlT_E1_NS1_11comp_targetILNS1_3genE4ELNS1_11target_archE910ELNS1_3gpuE8ELNS1_3repE0EEENS1_30default_config_static_selectorELNS0_4arch9wavefront6targetE0EEEvSF_
	.globl	_ZN7rocprim17ROCPRIM_400000_NS6detail17trampoline_kernelINS0_14default_configENS1_22reduce_config_selectorIfEEZNS1_11reduce_implILb1ES3_PfS7_fN6thrust23THRUST_200600_302600_NS4plusIfEEEE10hipError_tPvRmT1_T2_T3_mT4_P12ihipStream_tbEUlT_E1_NS1_11comp_targetILNS1_3genE4ELNS1_11target_archE910ELNS1_3gpuE8ELNS1_3repE0EEENS1_30default_config_static_selectorELNS0_4arch9wavefront6targetE0EEEvSF_
	.p2align	8
	.type	_ZN7rocprim17ROCPRIM_400000_NS6detail17trampoline_kernelINS0_14default_configENS1_22reduce_config_selectorIfEEZNS1_11reduce_implILb1ES3_PfS7_fN6thrust23THRUST_200600_302600_NS4plusIfEEEE10hipError_tPvRmT1_T2_T3_mT4_P12ihipStream_tbEUlT_E1_NS1_11comp_targetILNS1_3genE4ELNS1_11target_archE910ELNS1_3gpuE8ELNS1_3repE0EEENS1_30default_config_static_selectorELNS0_4arch9wavefront6targetE0EEEvSF_,@function
_ZN7rocprim17ROCPRIM_400000_NS6detail17trampoline_kernelINS0_14default_configENS1_22reduce_config_selectorIfEEZNS1_11reduce_implILb1ES3_PfS7_fN6thrust23THRUST_200600_302600_NS4plusIfEEEE10hipError_tPvRmT1_T2_T3_mT4_P12ihipStream_tbEUlT_E1_NS1_11comp_targetILNS1_3genE4ELNS1_11target_archE910ELNS1_3gpuE8ELNS1_3repE0EEENS1_30default_config_static_selectorELNS0_4arch9wavefront6targetE0EEEvSF_: ; @_ZN7rocprim17ROCPRIM_400000_NS6detail17trampoline_kernelINS0_14default_configENS1_22reduce_config_selectorIfEEZNS1_11reduce_implILb1ES3_PfS7_fN6thrust23THRUST_200600_302600_NS4plusIfEEEE10hipError_tPvRmT1_T2_T3_mT4_P12ihipStream_tbEUlT_E1_NS1_11comp_targetILNS1_3genE4ELNS1_11target_archE910ELNS1_3gpuE8ELNS1_3repE0EEENS1_30default_config_static_selectorELNS0_4arch9wavefront6targetE0EEEvSF_
; %bb.0:
	.section	.rodata,"a",@progbits
	.p2align	6, 0x0
	.amdhsa_kernel _ZN7rocprim17ROCPRIM_400000_NS6detail17trampoline_kernelINS0_14default_configENS1_22reduce_config_selectorIfEEZNS1_11reduce_implILb1ES3_PfS7_fN6thrust23THRUST_200600_302600_NS4plusIfEEEE10hipError_tPvRmT1_T2_T3_mT4_P12ihipStream_tbEUlT_E1_NS1_11comp_targetILNS1_3genE4ELNS1_11target_archE910ELNS1_3gpuE8ELNS1_3repE0EEENS1_30default_config_static_selectorELNS0_4arch9wavefront6targetE0EEEvSF_
		.amdhsa_group_segment_fixed_size 0
		.amdhsa_private_segment_fixed_size 0
		.amdhsa_kernarg_size 40
		.amdhsa_user_sgpr_count 2
		.amdhsa_user_sgpr_dispatch_ptr 0
		.amdhsa_user_sgpr_queue_ptr 0
		.amdhsa_user_sgpr_kernarg_segment_ptr 1
		.amdhsa_user_sgpr_dispatch_id 0
		.amdhsa_user_sgpr_kernarg_preload_length 0
		.amdhsa_user_sgpr_kernarg_preload_offset 0
		.amdhsa_user_sgpr_private_segment_size 0
		.amdhsa_wavefront_size32 1
		.amdhsa_uses_dynamic_stack 0
		.amdhsa_enable_private_segment 0
		.amdhsa_system_sgpr_workgroup_id_x 1
		.amdhsa_system_sgpr_workgroup_id_y 0
		.amdhsa_system_sgpr_workgroup_id_z 0
		.amdhsa_system_sgpr_workgroup_info 0
		.amdhsa_system_vgpr_workitem_id 0
		.amdhsa_next_free_vgpr 1
		.amdhsa_next_free_sgpr 1
		.amdhsa_named_barrier_count 0
		.amdhsa_reserve_vcc 0
		.amdhsa_float_round_mode_32 0
		.amdhsa_float_round_mode_16_64 0
		.amdhsa_float_denorm_mode_32 3
		.amdhsa_float_denorm_mode_16_64 3
		.amdhsa_fp16_overflow 0
		.amdhsa_memory_ordered 1
		.amdhsa_forward_progress 1
		.amdhsa_inst_pref_size 0
		.amdhsa_round_robin_scheduling 0
		.amdhsa_exception_fp_ieee_invalid_op 0
		.amdhsa_exception_fp_denorm_src 0
		.amdhsa_exception_fp_ieee_div_zero 0
		.amdhsa_exception_fp_ieee_overflow 0
		.amdhsa_exception_fp_ieee_underflow 0
		.amdhsa_exception_fp_ieee_inexact 0
		.amdhsa_exception_int_div_zero 0
	.end_amdhsa_kernel
	.section	.text._ZN7rocprim17ROCPRIM_400000_NS6detail17trampoline_kernelINS0_14default_configENS1_22reduce_config_selectorIfEEZNS1_11reduce_implILb1ES3_PfS7_fN6thrust23THRUST_200600_302600_NS4plusIfEEEE10hipError_tPvRmT1_T2_T3_mT4_P12ihipStream_tbEUlT_E1_NS1_11comp_targetILNS1_3genE4ELNS1_11target_archE910ELNS1_3gpuE8ELNS1_3repE0EEENS1_30default_config_static_selectorELNS0_4arch9wavefront6targetE0EEEvSF_,"axG",@progbits,_ZN7rocprim17ROCPRIM_400000_NS6detail17trampoline_kernelINS0_14default_configENS1_22reduce_config_selectorIfEEZNS1_11reduce_implILb1ES3_PfS7_fN6thrust23THRUST_200600_302600_NS4plusIfEEEE10hipError_tPvRmT1_T2_T3_mT4_P12ihipStream_tbEUlT_E1_NS1_11comp_targetILNS1_3genE4ELNS1_11target_archE910ELNS1_3gpuE8ELNS1_3repE0EEENS1_30default_config_static_selectorELNS0_4arch9wavefront6targetE0EEEvSF_,comdat
.Lfunc_end11:
	.size	_ZN7rocprim17ROCPRIM_400000_NS6detail17trampoline_kernelINS0_14default_configENS1_22reduce_config_selectorIfEEZNS1_11reduce_implILb1ES3_PfS7_fN6thrust23THRUST_200600_302600_NS4plusIfEEEE10hipError_tPvRmT1_T2_T3_mT4_P12ihipStream_tbEUlT_E1_NS1_11comp_targetILNS1_3genE4ELNS1_11target_archE910ELNS1_3gpuE8ELNS1_3repE0EEENS1_30default_config_static_selectorELNS0_4arch9wavefront6targetE0EEEvSF_, .Lfunc_end11-_ZN7rocprim17ROCPRIM_400000_NS6detail17trampoline_kernelINS0_14default_configENS1_22reduce_config_selectorIfEEZNS1_11reduce_implILb1ES3_PfS7_fN6thrust23THRUST_200600_302600_NS4plusIfEEEE10hipError_tPvRmT1_T2_T3_mT4_P12ihipStream_tbEUlT_E1_NS1_11comp_targetILNS1_3genE4ELNS1_11target_archE910ELNS1_3gpuE8ELNS1_3repE0EEENS1_30default_config_static_selectorELNS0_4arch9wavefront6targetE0EEEvSF_
                                        ; -- End function
	.set _ZN7rocprim17ROCPRIM_400000_NS6detail17trampoline_kernelINS0_14default_configENS1_22reduce_config_selectorIfEEZNS1_11reduce_implILb1ES3_PfS7_fN6thrust23THRUST_200600_302600_NS4plusIfEEEE10hipError_tPvRmT1_T2_T3_mT4_P12ihipStream_tbEUlT_E1_NS1_11comp_targetILNS1_3genE4ELNS1_11target_archE910ELNS1_3gpuE8ELNS1_3repE0EEENS1_30default_config_static_selectorELNS0_4arch9wavefront6targetE0EEEvSF_.num_vgpr, 0
	.set _ZN7rocprim17ROCPRIM_400000_NS6detail17trampoline_kernelINS0_14default_configENS1_22reduce_config_selectorIfEEZNS1_11reduce_implILb1ES3_PfS7_fN6thrust23THRUST_200600_302600_NS4plusIfEEEE10hipError_tPvRmT1_T2_T3_mT4_P12ihipStream_tbEUlT_E1_NS1_11comp_targetILNS1_3genE4ELNS1_11target_archE910ELNS1_3gpuE8ELNS1_3repE0EEENS1_30default_config_static_selectorELNS0_4arch9wavefront6targetE0EEEvSF_.num_agpr, 0
	.set _ZN7rocprim17ROCPRIM_400000_NS6detail17trampoline_kernelINS0_14default_configENS1_22reduce_config_selectorIfEEZNS1_11reduce_implILb1ES3_PfS7_fN6thrust23THRUST_200600_302600_NS4plusIfEEEE10hipError_tPvRmT1_T2_T3_mT4_P12ihipStream_tbEUlT_E1_NS1_11comp_targetILNS1_3genE4ELNS1_11target_archE910ELNS1_3gpuE8ELNS1_3repE0EEENS1_30default_config_static_selectorELNS0_4arch9wavefront6targetE0EEEvSF_.numbered_sgpr, 0
	.set _ZN7rocprim17ROCPRIM_400000_NS6detail17trampoline_kernelINS0_14default_configENS1_22reduce_config_selectorIfEEZNS1_11reduce_implILb1ES3_PfS7_fN6thrust23THRUST_200600_302600_NS4plusIfEEEE10hipError_tPvRmT1_T2_T3_mT4_P12ihipStream_tbEUlT_E1_NS1_11comp_targetILNS1_3genE4ELNS1_11target_archE910ELNS1_3gpuE8ELNS1_3repE0EEENS1_30default_config_static_selectorELNS0_4arch9wavefront6targetE0EEEvSF_.num_named_barrier, 0
	.set _ZN7rocprim17ROCPRIM_400000_NS6detail17trampoline_kernelINS0_14default_configENS1_22reduce_config_selectorIfEEZNS1_11reduce_implILb1ES3_PfS7_fN6thrust23THRUST_200600_302600_NS4plusIfEEEE10hipError_tPvRmT1_T2_T3_mT4_P12ihipStream_tbEUlT_E1_NS1_11comp_targetILNS1_3genE4ELNS1_11target_archE910ELNS1_3gpuE8ELNS1_3repE0EEENS1_30default_config_static_selectorELNS0_4arch9wavefront6targetE0EEEvSF_.private_seg_size, 0
	.set _ZN7rocprim17ROCPRIM_400000_NS6detail17trampoline_kernelINS0_14default_configENS1_22reduce_config_selectorIfEEZNS1_11reduce_implILb1ES3_PfS7_fN6thrust23THRUST_200600_302600_NS4plusIfEEEE10hipError_tPvRmT1_T2_T3_mT4_P12ihipStream_tbEUlT_E1_NS1_11comp_targetILNS1_3genE4ELNS1_11target_archE910ELNS1_3gpuE8ELNS1_3repE0EEENS1_30default_config_static_selectorELNS0_4arch9wavefront6targetE0EEEvSF_.uses_vcc, 0
	.set _ZN7rocprim17ROCPRIM_400000_NS6detail17trampoline_kernelINS0_14default_configENS1_22reduce_config_selectorIfEEZNS1_11reduce_implILb1ES3_PfS7_fN6thrust23THRUST_200600_302600_NS4plusIfEEEE10hipError_tPvRmT1_T2_T3_mT4_P12ihipStream_tbEUlT_E1_NS1_11comp_targetILNS1_3genE4ELNS1_11target_archE910ELNS1_3gpuE8ELNS1_3repE0EEENS1_30default_config_static_selectorELNS0_4arch9wavefront6targetE0EEEvSF_.uses_flat_scratch, 0
	.set _ZN7rocprim17ROCPRIM_400000_NS6detail17trampoline_kernelINS0_14default_configENS1_22reduce_config_selectorIfEEZNS1_11reduce_implILb1ES3_PfS7_fN6thrust23THRUST_200600_302600_NS4plusIfEEEE10hipError_tPvRmT1_T2_T3_mT4_P12ihipStream_tbEUlT_E1_NS1_11comp_targetILNS1_3genE4ELNS1_11target_archE910ELNS1_3gpuE8ELNS1_3repE0EEENS1_30default_config_static_selectorELNS0_4arch9wavefront6targetE0EEEvSF_.has_dyn_sized_stack, 0
	.set _ZN7rocprim17ROCPRIM_400000_NS6detail17trampoline_kernelINS0_14default_configENS1_22reduce_config_selectorIfEEZNS1_11reduce_implILb1ES3_PfS7_fN6thrust23THRUST_200600_302600_NS4plusIfEEEE10hipError_tPvRmT1_T2_T3_mT4_P12ihipStream_tbEUlT_E1_NS1_11comp_targetILNS1_3genE4ELNS1_11target_archE910ELNS1_3gpuE8ELNS1_3repE0EEENS1_30default_config_static_selectorELNS0_4arch9wavefront6targetE0EEEvSF_.has_recursion, 0
	.set _ZN7rocprim17ROCPRIM_400000_NS6detail17trampoline_kernelINS0_14default_configENS1_22reduce_config_selectorIfEEZNS1_11reduce_implILb1ES3_PfS7_fN6thrust23THRUST_200600_302600_NS4plusIfEEEE10hipError_tPvRmT1_T2_T3_mT4_P12ihipStream_tbEUlT_E1_NS1_11comp_targetILNS1_3genE4ELNS1_11target_archE910ELNS1_3gpuE8ELNS1_3repE0EEENS1_30default_config_static_selectorELNS0_4arch9wavefront6targetE0EEEvSF_.has_indirect_call, 0
	.section	.AMDGPU.csdata,"",@progbits
; Kernel info:
; codeLenInByte = 0
; TotalNumSgprs: 0
; NumVgprs: 0
; ScratchSize: 0
; MemoryBound: 0
; FloatMode: 240
; IeeeMode: 1
; LDSByteSize: 0 bytes/workgroup (compile time only)
; SGPRBlocks: 0
; VGPRBlocks: 0
; NumSGPRsForWavesPerEU: 1
; NumVGPRsForWavesPerEU: 1
; NamedBarCnt: 0
; Occupancy: 16
; WaveLimiterHint : 0
; COMPUTE_PGM_RSRC2:SCRATCH_EN: 0
; COMPUTE_PGM_RSRC2:USER_SGPR: 2
; COMPUTE_PGM_RSRC2:TRAP_HANDLER: 0
; COMPUTE_PGM_RSRC2:TGID_X_EN: 1
; COMPUTE_PGM_RSRC2:TGID_Y_EN: 0
; COMPUTE_PGM_RSRC2:TGID_Z_EN: 0
; COMPUTE_PGM_RSRC2:TIDIG_COMP_CNT: 0
	.section	.text._ZN7rocprim17ROCPRIM_400000_NS6detail17trampoline_kernelINS0_14default_configENS1_22reduce_config_selectorIfEEZNS1_11reduce_implILb1ES3_PfS7_fN6thrust23THRUST_200600_302600_NS4plusIfEEEE10hipError_tPvRmT1_T2_T3_mT4_P12ihipStream_tbEUlT_E1_NS1_11comp_targetILNS1_3genE3ELNS1_11target_archE908ELNS1_3gpuE7ELNS1_3repE0EEENS1_30default_config_static_selectorELNS0_4arch9wavefront6targetE0EEEvSF_,"axG",@progbits,_ZN7rocprim17ROCPRIM_400000_NS6detail17trampoline_kernelINS0_14default_configENS1_22reduce_config_selectorIfEEZNS1_11reduce_implILb1ES3_PfS7_fN6thrust23THRUST_200600_302600_NS4plusIfEEEE10hipError_tPvRmT1_T2_T3_mT4_P12ihipStream_tbEUlT_E1_NS1_11comp_targetILNS1_3genE3ELNS1_11target_archE908ELNS1_3gpuE7ELNS1_3repE0EEENS1_30default_config_static_selectorELNS0_4arch9wavefront6targetE0EEEvSF_,comdat
	.protected	_ZN7rocprim17ROCPRIM_400000_NS6detail17trampoline_kernelINS0_14default_configENS1_22reduce_config_selectorIfEEZNS1_11reduce_implILb1ES3_PfS7_fN6thrust23THRUST_200600_302600_NS4plusIfEEEE10hipError_tPvRmT1_T2_T3_mT4_P12ihipStream_tbEUlT_E1_NS1_11comp_targetILNS1_3genE3ELNS1_11target_archE908ELNS1_3gpuE7ELNS1_3repE0EEENS1_30default_config_static_selectorELNS0_4arch9wavefront6targetE0EEEvSF_ ; -- Begin function _ZN7rocprim17ROCPRIM_400000_NS6detail17trampoline_kernelINS0_14default_configENS1_22reduce_config_selectorIfEEZNS1_11reduce_implILb1ES3_PfS7_fN6thrust23THRUST_200600_302600_NS4plusIfEEEE10hipError_tPvRmT1_T2_T3_mT4_P12ihipStream_tbEUlT_E1_NS1_11comp_targetILNS1_3genE3ELNS1_11target_archE908ELNS1_3gpuE7ELNS1_3repE0EEENS1_30default_config_static_selectorELNS0_4arch9wavefront6targetE0EEEvSF_
	.globl	_ZN7rocprim17ROCPRIM_400000_NS6detail17trampoline_kernelINS0_14default_configENS1_22reduce_config_selectorIfEEZNS1_11reduce_implILb1ES3_PfS7_fN6thrust23THRUST_200600_302600_NS4plusIfEEEE10hipError_tPvRmT1_T2_T3_mT4_P12ihipStream_tbEUlT_E1_NS1_11comp_targetILNS1_3genE3ELNS1_11target_archE908ELNS1_3gpuE7ELNS1_3repE0EEENS1_30default_config_static_selectorELNS0_4arch9wavefront6targetE0EEEvSF_
	.p2align	8
	.type	_ZN7rocprim17ROCPRIM_400000_NS6detail17trampoline_kernelINS0_14default_configENS1_22reduce_config_selectorIfEEZNS1_11reduce_implILb1ES3_PfS7_fN6thrust23THRUST_200600_302600_NS4plusIfEEEE10hipError_tPvRmT1_T2_T3_mT4_P12ihipStream_tbEUlT_E1_NS1_11comp_targetILNS1_3genE3ELNS1_11target_archE908ELNS1_3gpuE7ELNS1_3repE0EEENS1_30default_config_static_selectorELNS0_4arch9wavefront6targetE0EEEvSF_,@function
_ZN7rocprim17ROCPRIM_400000_NS6detail17trampoline_kernelINS0_14default_configENS1_22reduce_config_selectorIfEEZNS1_11reduce_implILb1ES3_PfS7_fN6thrust23THRUST_200600_302600_NS4plusIfEEEE10hipError_tPvRmT1_T2_T3_mT4_P12ihipStream_tbEUlT_E1_NS1_11comp_targetILNS1_3genE3ELNS1_11target_archE908ELNS1_3gpuE7ELNS1_3repE0EEENS1_30default_config_static_selectorELNS0_4arch9wavefront6targetE0EEEvSF_: ; @_ZN7rocprim17ROCPRIM_400000_NS6detail17trampoline_kernelINS0_14default_configENS1_22reduce_config_selectorIfEEZNS1_11reduce_implILb1ES3_PfS7_fN6thrust23THRUST_200600_302600_NS4plusIfEEEE10hipError_tPvRmT1_T2_T3_mT4_P12ihipStream_tbEUlT_E1_NS1_11comp_targetILNS1_3genE3ELNS1_11target_archE908ELNS1_3gpuE7ELNS1_3repE0EEENS1_30default_config_static_selectorELNS0_4arch9wavefront6targetE0EEEvSF_
; %bb.0:
	.section	.rodata,"a",@progbits
	.p2align	6, 0x0
	.amdhsa_kernel _ZN7rocprim17ROCPRIM_400000_NS6detail17trampoline_kernelINS0_14default_configENS1_22reduce_config_selectorIfEEZNS1_11reduce_implILb1ES3_PfS7_fN6thrust23THRUST_200600_302600_NS4plusIfEEEE10hipError_tPvRmT1_T2_T3_mT4_P12ihipStream_tbEUlT_E1_NS1_11comp_targetILNS1_3genE3ELNS1_11target_archE908ELNS1_3gpuE7ELNS1_3repE0EEENS1_30default_config_static_selectorELNS0_4arch9wavefront6targetE0EEEvSF_
		.amdhsa_group_segment_fixed_size 0
		.amdhsa_private_segment_fixed_size 0
		.amdhsa_kernarg_size 40
		.amdhsa_user_sgpr_count 2
		.amdhsa_user_sgpr_dispatch_ptr 0
		.amdhsa_user_sgpr_queue_ptr 0
		.amdhsa_user_sgpr_kernarg_segment_ptr 1
		.amdhsa_user_sgpr_dispatch_id 0
		.amdhsa_user_sgpr_kernarg_preload_length 0
		.amdhsa_user_sgpr_kernarg_preload_offset 0
		.amdhsa_user_sgpr_private_segment_size 0
		.amdhsa_wavefront_size32 1
		.amdhsa_uses_dynamic_stack 0
		.amdhsa_enable_private_segment 0
		.amdhsa_system_sgpr_workgroup_id_x 1
		.amdhsa_system_sgpr_workgroup_id_y 0
		.amdhsa_system_sgpr_workgroup_id_z 0
		.amdhsa_system_sgpr_workgroup_info 0
		.amdhsa_system_vgpr_workitem_id 0
		.amdhsa_next_free_vgpr 1
		.amdhsa_next_free_sgpr 1
		.amdhsa_named_barrier_count 0
		.amdhsa_reserve_vcc 0
		.amdhsa_float_round_mode_32 0
		.amdhsa_float_round_mode_16_64 0
		.amdhsa_float_denorm_mode_32 3
		.amdhsa_float_denorm_mode_16_64 3
		.amdhsa_fp16_overflow 0
		.amdhsa_memory_ordered 1
		.amdhsa_forward_progress 1
		.amdhsa_inst_pref_size 0
		.amdhsa_round_robin_scheduling 0
		.amdhsa_exception_fp_ieee_invalid_op 0
		.amdhsa_exception_fp_denorm_src 0
		.amdhsa_exception_fp_ieee_div_zero 0
		.amdhsa_exception_fp_ieee_overflow 0
		.amdhsa_exception_fp_ieee_underflow 0
		.amdhsa_exception_fp_ieee_inexact 0
		.amdhsa_exception_int_div_zero 0
	.end_amdhsa_kernel
	.section	.text._ZN7rocprim17ROCPRIM_400000_NS6detail17trampoline_kernelINS0_14default_configENS1_22reduce_config_selectorIfEEZNS1_11reduce_implILb1ES3_PfS7_fN6thrust23THRUST_200600_302600_NS4plusIfEEEE10hipError_tPvRmT1_T2_T3_mT4_P12ihipStream_tbEUlT_E1_NS1_11comp_targetILNS1_3genE3ELNS1_11target_archE908ELNS1_3gpuE7ELNS1_3repE0EEENS1_30default_config_static_selectorELNS0_4arch9wavefront6targetE0EEEvSF_,"axG",@progbits,_ZN7rocprim17ROCPRIM_400000_NS6detail17trampoline_kernelINS0_14default_configENS1_22reduce_config_selectorIfEEZNS1_11reduce_implILb1ES3_PfS7_fN6thrust23THRUST_200600_302600_NS4plusIfEEEE10hipError_tPvRmT1_T2_T3_mT4_P12ihipStream_tbEUlT_E1_NS1_11comp_targetILNS1_3genE3ELNS1_11target_archE908ELNS1_3gpuE7ELNS1_3repE0EEENS1_30default_config_static_selectorELNS0_4arch9wavefront6targetE0EEEvSF_,comdat
.Lfunc_end12:
	.size	_ZN7rocprim17ROCPRIM_400000_NS6detail17trampoline_kernelINS0_14default_configENS1_22reduce_config_selectorIfEEZNS1_11reduce_implILb1ES3_PfS7_fN6thrust23THRUST_200600_302600_NS4plusIfEEEE10hipError_tPvRmT1_T2_T3_mT4_P12ihipStream_tbEUlT_E1_NS1_11comp_targetILNS1_3genE3ELNS1_11target_archE908ELNS1_3gpuE7ELNS1_3repE0EEENS1_30default_config_static_selectorELNS0_4arch9wavefront6targetE0EEEvSF_, .Lfunc_end12-_ZN7rocprim17ROCPRIM_400000_NS6detail17trampoline_kernelINS0_14default_configENS1_22reduce_config_selectorIfEEZNS1_11reduce_implILb1ES3_PfS7_fN6thrust23THRUST_200600_302600_NS4plusIfEEEE10hipError_tPvRmT1_T2_T3_mT4_P12ihipStream_tbEUlT_E1_NS1_11comp_targetILNS1_3genE3ELNS1_11target_archE908ELNS1_3gpuE7ELNS1_3repE0EEENS1_30default_config_static_selectorELNS0_4arch9wavefront6targetE0EEEvSF_
                                        ; -- End function
	.set _ZN7rocprim17ROCPRIM_400000_NS6detail17trampoline_kernelINS0_14default_configENS1_22reduce_config_selectorIfEEZNS1_11reduce_implILb1ES3_PfS7_fN6thrust23THRUST_200600_302600_NS4plusIfEEEE10hipError_tPvRmT1_T2_T3_mT4_P12ihipStream_tbEUlT_E1_NS1_11comp_targetILNS1_3genE3ELNS1_11target_archE908ELNS1_3gpuE7ELNS1_3repE0EEENS1_30default_config_static_selectorELNS0_4arch9wavefront6targetE0EEEvSF_.num_vgpr, 0
	.set _ZN7rocprim17ROCPRIM_400000_NS6detail17trampoline_kernelINS0_14default_configENS1_22reduce_config_selectorIfEEZNS1_11reduce_implILb1ES3_PfS7_fN6thrust23THRUST_200600_302600_NS4plusIfEEEE10hipError_tPvRmT1_T2_T3_mT4_P12ihipStream_tbEUlT_E1_NS1_11comp_targetILNS1_3genE3ELNS1_11target_archE908ELNS1_3gpuE7ELNS1_3repE0EEENS1_30default_config_static_selectorELNS0_4arch9wavefront6targetE0EEEvSF_.num_agpr, 0
	.set _ZN7rocprim17ROCPRIM_400000_NS6detail17trampoline_kernelINS0_14default_configENS1_22reduce_config_selectorIfEEZNS1_11reduce_implILb1ES3_PfS7_fN6thrust23THRUST_200600_302600_NS4plusIfEEEE10hipError_tPvRmT1_T2_T3_mT4_P12ihipStream_tbEUlT_E1_NS1_11comp_targetILNS1_3genE3ELNS1_11target_archE908ELNS1_3gpuE7ELNS1_3repE0EEENS1_30default_config_static_selectorELNS0_4arch9wavefront6targetE0EEEvSF_.numbered_sgpr, 0
	.set _ZN7rocprim17ROCPRIM_400000_NS6detail17trampoline_kernelINS0_14default_configENS1_22reduce_config_selectorIfEEZNS1_11reduce_implILb1ES3_PfS7_fN6thrust23THRUST_200600_302600_NS4plusIfEEEE10hipError_tPvRmT1_T2_T3_mT4_P12ihipStream_tbEUlT_E1_NS1_11comp_targetILNS1_3genE3ELNS1_11target_archE908ELNS1_3gpuE7ELNS1_3repE0EEENS1_30default_config_static_selectorELNS0_4arch9wavefront6targetE0EEEvSF_.num_named_barrier, 0
	.set _ZN7rocprim17ROCPRIM_400000_NS6detail17trampoline_kernelINS0_14default_configENS1_22reduce_config_selectorIfEEZNS1_11reduce_implILb1ES3_PfS7_fN6thrust23THRUST_200600_302600_NS4plusIfEEEE10hipError_tPvRmT1_T2_T3_mT4_P12ihipStream_tbEUlT_E1_NS1_11comp_targetILNS1_3genE3ELNS1_11target_archE908ELNS1_3gpuE7ELNS1_3repE0EEENS1_30default_config_static_selectorELNS0_4arch9wavefront6targetE0EEEvSF_.private_seg_size, 0
	.set _ZN7rocprim17ROCPRIM_400000_NS6detail17trampoline_kernelINS0_14default_configENS1_22reduce_config_selectorIfEEZNS1_11reduce_implILb1ES3_PfS7_fN6thrust23THRUST_200600_302600_NS4plusIfEEEE10hipError_tPvRmT1_T2_T3_mT4_P12ihipStream_tbEUlT_E1_NS1_11comp_targetILNS1_3genE3ELNS1_11target_archE908ELNS1_3gpuE7ELNS1_3repE0EEENS1_30default_config_static_selectorELNS0_4arch9wavefront6targetE0EEEvSF_.uses_vcc, 0
	.set _ZN7rocprim17ROCPRIM_400000_NS6detail17trampoline_kernelINS0_14default_configENS1_22reduce_config_selectorIfEEZNS1_11reduce_implILb1ES3_PfS7_fN6thrust23THRUST_200600_302600_NS4plusIfEEEE10hipError_tPvRmT1_T2_T3_mT4_P12ihipStream_tbEUlT_E1_NS1_11comp_targetILNS1_3genE3ELNS1_11target_archE908ELNS1_3gpuE7ELNS1_3repE0EEENS1_30default_config_static_selectorELNS0_4arch9wavefront6targetE0EEEvSF_.uses_flat_scratch, 0
	.set _ZN7rocprim17ROCPRIM_400000_NS6detail17trampoline_kernelINS0_14default_configENS1_22reduce_config_selectorIfEEZNS1_11reduce_implILb1ES3_PfS7_fN6thrust23THRUST_200600_302600_NS4plusIfEEEE10hipError_tPvRmT1_T2_T3_mT4_P12ihipStream_tbEUlT_E1_NS1_11comp_targetILNS1_3genE3ELNS1_11target_archE908ELNS1_3gpuE7ELNS1_3repE0EEENS1_30default_config_static_selectorELNS0_4arch9wavefront6targetE0EEEvSF_.has_dyn_sized_stack, 0
	.set _ZN7rocprim17ROCPRIM_400000_NS6detail17trampoline_kernelINS0_14default_configENS1_22reduce_config_selectorIfEEZNS1_11reduce_implILb1ES3_PfS7_fN6thrust23THRUST_200600_302600_NS4plusIfEEEE10hipError_tPvRmT1_T2_T3_mT4_P12ihipStream_tbEUlT_E1_NS1_11comp_targetILNS1_3genE3ELNS1_11target_archE908ELNS1_3gpuE7ELNS1_3repE0EEENS1_30default_config_static_selectorELNS0_4arch9wavefront6targetE0EEEvSF_.has_recursion, 0
	.set _ZN7rocprim17ROCPRIM_400000_NS6detail17trampoline_kernelINS0_14default_configENS1_22reduce_config_selectorIfEEZNS1_11reduce_implILb1ES3_PfS7_fN6thrust23THRUST_200600_302600_NS4plusIfEEEE10hipError_tPvRmT1_T2_T3_mT4_P12ihipStream_tbEUlT_E1_NS1_11comp_targetILNS1_3genE3ELNS1_11target_archE908ELNS1_3gpuE7ELNS1_3repE0EEENS1_30default_config_static_selectorELNS0_4arch9wavefront6targetE0EEEvSF_.has_indirect_call, 0
	.section	.AMDGPU.csdata,"",@progbits
; Kernel info:
; codeLenInByte = 0
; TotalNumSgprs: 0
; NumVgprs: 0
; ScratchSize: 0
; MemoryBound: 0
; FloatMode: 240
; IeeeMode: 1
; LDSByteSize: 0 bytes/workgroup (compile time only)
; SGPRBlocks: 0
; VGPRBlocks: 0
; NumSGPRsForWavesPerEU: 1
; NumVGPRsForWavesPerEU: 1
; NamedBarCnt: 0
; Occupancy: 16
; WaveLimiterHint : 0
; COMPUTE_PGM_RSRC2:SCRATCH_EN: 0
; COMPUTE_PGM_RSRC2:USER_SGPR: 2
; COMPUTE_PGM_RSRC2:TRAP_HANDLER: 0
; COMPUTE_PGM_RSRC2:TGID_X_EN: 1
; COMPUTE_PGM_RSRC2:TGID_Y_EN: 0
; COMPUTE_PGM_RSRC2:TGID_Z_EN: 0
; COMPUTE_PGM_RSRC2:TIDIG_COMP_CNT: 0
	.section	.text._ZN7rocprim17ROCPRIM_400000_NS6detail17trampoline_kernelINS0_14default_configENS1_22reduce_config_selectorIfEEZNS1_11reduce_implILb1ES3_PfS7_fN6thrust23THRUST_200600_302600_NS4plusIfEEEE10hipError_tPvRmT1_T2_T3_mT4_P12ihipStream_tbEUlT_E1_NS1_11comp_targetILNS1_3genE2ELNS1_11target_archE906ELNS1_3gpuE6ELNS1_3repE0EEENS1_30default_config_static_selectorELNS0_4arch9wavefront6targetE0EEEvSF_,"axG",@progbits,_ZN7rocprim17ROCPRIM_400000_NS6detail17trampoline_kernelINS0_14default_configENS1_22reduce_config_selectorIfEEZNS1_11reduce_implILb1ES3_PfS7_fN6thrust23THRUST_200600_302600_NS4plusIfEEEE10hipError_tPvRmT1_T2_T3_mT4_P12ihipStream_tbEUlT_E1_NS1_11comp_targetILNS1_3genE2ELNS1_11target_archE906ELNS1_3gpuE6ELNS1_3repE0EEENS1_30default_config_static_selectorELNS0_4arch9wavefront6targetE0EEEvSF_,comdat
	.protected	_ZN7rocprim17ROCPRIM_400000_NS6detail17trampoline_kernelINS0_14default_configENS1_22reduce_config_selectorIfEEZNS1_11reduce_implILb1ES3_PfS7_fN6thrust23THRUST_200600_302600_NS4plusIfEEEE10hipError_tPvRmT1_T2_T3_mT4_P12ihipStream_tbEUlT_E1_NS1_11comp_targetILNS1_3genE2ELNS1_11target_archE906ELNS1_3gpuE6ELNS1_3repE0EEENS1_30default_config_static_selectorELNS0_4arch9wavefront6targetE0EEEvSF_ ; -- Begin function _ZN7rocprim17ROCPRIM_400000_NS6detail17trampoline_kernelINS0_14default_configENS1_22reduce_config_selectorIfEEZNS1_11reduce_implILb1ES3_PfS7_fN6thrust23THRUST_200600_302600_NS4plusIfEEEE10hipError_tPvRmT1_T2_T3_mT4_P12ihipStream_tbEUlT_E1_NS1_11comp_targetILNS1_3genE2ELNS1_11target_archE906ELNS1_3gpuE6ELNS1_3repE0EEENS1_30default_config_static_selectorELNS0_4arch9wavefront6targetE0EEEvSF_
	.globl	_ZN7rocprim17ROCPRIM_400000_NS6detail17trampoline_kernelINS0_14default_configENS1_22reduce_config_selectorIfEEZNS1_11reduce_implILb1ES3_PfS7_fN6thrust23THRUST_200600_302600_NS4plusIfEEEE10hipError_tPvRmT1_T2_T3_mT4_P12ihipStream_tbEUlT_E1_NS1_11comp_targetILNS1_3genE2ELNS1_11target_archE906ELNS1_3gpuE6ELNS1_3repE0EEENS1_30default_config_static_selectorELNS0_4arch9wavefront6targetE0EEEvSF_
	.p2align	8
	.type	_ZN7rocprim17ROCPRIM_400000_NS6detail17trampoline_kernelINS0_14default_configENS1_22reduce_config_selectorIfEEZNS1_11reduce_implILb1ES3_PfS7_fN6thrust23THRUST_200600_302600_NS4plusIfEEEE10hipError_tPvRmT1_T2_T3_mT4_P12ihipStream_tbEUlT_E1_NS1_11comp_targetILNS1_3genE2ELNS1_11target_archE906ELNS1_3gpuE6ELNS1_3repE0EEENS1_30default_config_static_selectorELNS0_4arch9wavefront6targetE0EEEvSF_,@function
_ZN7rocprim17ROCPRIM_400000_NS6detail17trampoline_kernelINS0_14default_configENS1_22reduce_config_selectorIfEEZNS1_11reduce_implILb1ES3_PfS7_fN6thrust23THRUST_200600_302600_NS4plusIfEEEE10hipError_tPvRmT1_T2_T3_mT4_P12ihipStream_tbEUlT_E1_NS1_11comp_targetILNS1_3genE2ELNS1_11target_archE906ELNS1_3gpuE6ELNS1_3repE0EEENS1_30default_config_static_selectorELNS0_4arch9wavefront6targetE0EEEvSF_: ; @_ZN7rocprim17ROCPRIM_400000_NS6detail17trampoline_kernelINS0_14default_configENS1_22reduce_config_selectorIfEEZNS1_11reduce_implILb1ES3_PfS7_fN6thrust23THRUST_200600_302600_NS4plusIfEEEE10hipError_tPvRmT1_T2_T3_mT4_P12ihipStream_tbEUlT_E1_NS1_11comp_targetILNS1_3genE2ELNS1_11target_archE906ELNS1_3gpuE6ELNS1_3repE0EEENS1_30default_config_static_selectorELNS0_4arch9wavefront6targetE0EEEvSF_
; %bb.0:
	.section	.rodata,"a",@progbits
	.p2align	6, 0x0
	.amdhsa_kernel _ZN7rocprim17ROCPRIM_400000_NS6detail17trampoline_kernelINS0_14default_configENS1_22reduce_config_selectorIfEEZNS1_11reduce_implILb1ES3_PfS7_fN6thrust23THRUST_200600_302600_NS4plusIfEEEE10hipError_tPvRmT1_T2_T3_mT4_P12ihipStream_tbEUlT_E1_NS1_11comp_targetILNS1_3genE2ELNS1_11target_archE906ELNS1_3gpuE6ELNS1_3repE0EEENS1_30default_config_static_selectorELNS0_4arch9wavefront6targetE0EEEvSF_
		.amdhsa_group_segment_fixed_size 0
		.amdhsa_private_segment_fixed_size 0
		.amdhsa_kernarg_size 40
		.amdhsa_user_sgpr_count 2
		.amdhsa_user_sgpr_dispatch_ptr 0
		.amdhsa_user_sgpr_queue_ptr 0
		.amdhsa_user_sgpr_kernarg_segment_ptr 1
		.amdhsa_user_sgpr_dispatch_id 0
		.amdhsa_user_sgpr_kernarg_preload_length 0
		.amdhsa_user_sgpr_kernarg_preload_offset 0
		.amdhsa_user_sgpr_private_segment_size 0
		.amdhsa_wavefront_size32 1
		.amdhsa_uses_dynamic_stack 0
		.amdhsa_enable_private_segment 0
		.amdhsa_system_sgpr_workgroup_id_x 1
		.amdhsa_system_sgpr_workgroup_id_y 0
		.amdhsa_system_sgpr_workgroup_id_z 0
		.amdhsa_system_sgpr_workgroup_info 0
		.amdhsa_system_vgpr_workitem_id 0
		.amdhsa_next_free_vgpr 1
		.amdhsa_next_free_sgpr 1
		.amdhsa_named_barrier_count 0
		.amdhsa_reserve_vcc 0
		.amdhsa_float_round_mode_32 0
		.amdhsa_float_round_mode_16_64 0
		.amdhsa_float_denorm_mode_32 3
		.amdhsa_float_denorm_mode_16_64 3
		.amdhsa_fp16_overflow 0
		.amdhsa_memory_ordered 1
		.amdhsa_forward_progress 1
		.amdhsa_inst_pref_size 0
		.amdhsa_round_robin_scheduling 0
		.amdhsa_exception_fp_ieee_invalid_op 0
		.amdhsa_exception_fp_denorm_src 0
		.amdhsa_exception_fp_ieee_div_zero 0
		.amdhsa_exception_fp_ieee_overflow 0
		.amdhsa_exception_fp_ieee_underflow 0
		.amdhsa_exception_fp_ieee_inexact 0
		.amdhsa_exception_int_div_zero 0
	.end_amdhsa_kernel
	.section	.text._ZN7rocprim17ROCPRIM_400000_NS6detail17trampoline_kernelINS0_14default_configENS1_22reduce_config_selectorIfEEZNS1_11reduce_implILb1ES3_PfS7_fN6thrust23THRUST_200600_302600_NS4plusIfEEEE10hipError_tPvRmT1_T2_T3_mT4_P12ihipStream_tbEUlT_E1_NS1_11comp_targetILNS1_3genE2ELNS1_11target_archE906ELNS1_3gpuE6ELNS1_3repE0EEENS1_30default_config_static_selectorELNS0_4arch9wavefront6targetE0EEEvSF_,"axG",@progbits,_ZN7rocprim17ROCPRIM_400000_NS6detail17trampoline_kernelINS0_14default_configENS1_22reduce_config_selectorIfEEZNS1_11reduce_implILb1ES3_PfS7_fN6thrust23THRUST_200600_302600_NS4plusIfEEEE10hipError_tPvRmT1_T2_T3_mT4_P12ihipStream_tbEUlT_E1_NS1_11comp_targetILNS1_3genE2ELNS1_11target_archE906ELNS1_3gpuE6ELNS1_3repE0EEENS1_30default_config_static_selectorELNS0_4arch9wavefront6targetE0EEEvSF_,comdat
.Lfunc_end13:
	.size	_ZN7rocprim17ROCPRIM_400000_NS6detail17trampoline_kernelINS0_14default_configENS1_22reduce_config_selectorIfEEZNS1_11reduce_implILb1ES3_PfS7_fN6thrust23THRUST_200600_302600_NS4plusIfEEEE10hipError_tPvRmT1_T2_T3_mT4_P12ihipStream_tbEUlT_E1_NS1_11comp_targetILNS1_3genE2ELNS1_11target_archE906ELNS1_3gpuE6ELNS1_3repE0EEENS1_30default_config_static_selectorELNS0_4arch9wavefront6targetE0EEEvSF_, .Lfunc_end13-_ZN7rocprim17ROCPRIM_400000_NS6detail17trampoline_kernelINS0_14default_configENS1_22reduce_config_selectorIfEEZNS1_11reduce_implILb1ES3_PfS7_fN6thrust23THRUST_200600_302600_NS4plusIfEEEE10hipError_tPvRmT1_T2_T3_mT4_P12ihipStream_tbEUlT_E1_NS1_11comp_targetILNS1_3genE2ELNS1_11target_archE906ELNS1_3gpuE6ELNS1_3repE0EEENS1_30default_config_static_selectorELNS0_4arch9wavefront6targetE0EEEvSF_
                                        ; -- End function
	.set _ZN7rocprim17ROCPRIM_400000_NS6detail17trampoline_kernelINS0_14default_configENS1_22reduce_config_selectorIfEEZNS1_11reduce_implILb1ES3_PfS7_fN6thrust23THRUST_200600_302600_NS4plusIfEEEE10hipError_tPvRmT1_T2_T3_mT4_P12ihipStream_tbEUlT_E1_NS1_11comp_targetILNS1_3genE2ELNS1_11target_archE906ELNS1_3gpuE6ELNS1_3repE0EEENS1_30default_config_static_selectorELNS0_4arch9wavefront6targetE0EEEvSF_.num_vgpr, 0
	.set _ZN7rocprim17ROCPRIM_400000_NS6detail17trampoline_kernelINS0_14default_configENS1_22reduce_config_selectorIfEEZNS1_11reduce_implILb1ES3_PfS7_fN6thrust23THRUST_200600_302600_NS4plusIfEEEE10hipError_tPvRmT1_T2_T3_mT4_P12ihipStream_tbEUlT_E1_NS1_11comp_targetILNS1_3genE2ELNS1_11target_archE906ELNS1_3gpuE6ELNS1_3repE0EEENS1_30default_config_static_selectorELNS0_4arch9wavefront6targetE0EEEvSF_.num_agpr, 0
	.set _ZN7rocprim17ROCPRIM_400000_NS6detail17trampoline_kernelINS0_14default_configENS1_22reduce_config_selectorIfEEZNS1_11reduce_implILb1ES3_PfS7_fN6thrust23THRUST_200600_302600_NS4plusIfEEEE10hipError_tPvRmT1_T2_T3_mT4_P12ihipStream_tbEUlT_E1_NS1_11comp_targetILNS1_3genE2ELNS1_11target_archE906ELNS1_3gpuE6ELNS1_3repE0EEENS1_30default_config_static_selectorELNS0_4arch9wavefront6targetE0EEEvSF_.numbered_sgpr, 0
	.set _ZN7rocprim17ROCPRIM_400000_NS6detail17trampoline_kernelINS0_14default_configENS1_22reduce_config_selectorIfEEZNS1_11reduce_implILb1ES3_PfS7_fN6thrust23THRUST_200600_302600_NS4plusIfEEEE10hipError_tPvRmT1_T2_T3_mT4_P12ihipStream_tbEUlT_E1_NS1_11comp_targetILNS1_3genE2ELNS1_11target_archE906ELNS1_3gpuE6ELNS1_3repE0EEENS1_30default_config_static_selectorELNS0_4arch9wavefront6targetE0EEEvSF_.num_named_barrier, 0
	.set _ZN7rocprim17ROCPRIM_400000_NS6detail17trampoline_kernelINS0_14default_configENS1_22reduce_config_selectorIfEEZNS1_11reduce_implILb1ES3_PfS7_fN6thrust23THRUST_200600_302600_NS4plusIfEEEE10hipError_tPvRmT1_T2_T3_mT4_P12ihipStream_tbEUlT_E1_NS1_11comp_targetILNS1_3genE2ELNS1_11target_archE906ELNS1_3gpuE6ELNS1_3repE0EEENS1_30default_config_static_selectorELNS0_4arch9wavefront6targetE0EEEvSF_.private_seg_size, 0
	.set _ZN7rocprim17ROCPRIM_400000_NS6detail17trampoline_kernelINS0_14default_configENS1_22reduce_config_selectorIfEEZNS1_11reduce_implILb1ES3_PfS7_fN6thrust23THRUST_200600_302600_NS4plusIfEEEE10hipError_tPvRmT1_T2_T3_mT4_P12ihipStream_tbEUlT_E1_NS1_11comp_targetILNS1_3genE2ELNS1_11target_archE906ELNS1_3gpuE6ELNS1_3repE0EEENS1_30default_config_static_selectorELNS0_4arch9wavefront6targetE0EEEvSF_.uses_vcc, 0
	.set _ZN7rocprim17ROCPRIM_400000_NS6detail17trampoline_kernelINS0_14default_configENS1_22reduce_config_selectorIfEEZNS1_11reduce_implILb1ES3_PfS7_fN6thrust23THRUST_200600_302600_NS4plusIfEEEE10hipError_tPvRmT1_T2_T3_mT4_P12ihipStream_tbEUlT_E1_NS1_11comp_targetILNS1_3genE2ELNS1_11target_archE906ELNS1_3gpuE6ELNS1_3repE0EEENS1_30default_config_static_selectorELNS0_4arch9wavefront6targetE0EEEvSF_.uses_flat_scratch, 0
	.set _ZN7rocprim17ROCPRIM_400000_NS6detail17trampoline_kernelINS0_14default_configENS1_22reduce_config_selectorIfEEZNS1_11reduce_implILb1ES3_PfS7_fN6thrust23THRUST_200600_302600_NS4plusIfEEEE10hipError_tPvRmT1_T2_T3_mT4_P12ihipStream_tbEUlT_E1_NS1_11comp_targetILNS1_3genE2ELNS1_11target_archE906ELNS1_3gpuE6ELNS1_3repE0EEENS1_30default_config_static_selectorELNS0_4arch9wavefront6targetE0EEEvSF_.has_dyn_sized_stack, 0
	.set _ZN7rocprim17ROCPRIM_400000_NS6detail17trampoline_kernelINS0_14default_configENS1_22reduce_config_selectorIfEEZNS1_11reduce_implILb1ES3_PfS7_fN6thrust23THRUST_200600_302600_NS4plusIfEEEE10hipError_tPvRmT1_T2_T3_mT4_P12ihipStream_tbEUlT_E1_NS1_11comp_targetILNS1_3genE2ELNS1_11target_archE906ELNS1_3gpuE6ELNS1_3repE0EEENS1_30default_config_static_selectorELNS0_4arch9wavefront6targetE0EEEvSF_.has_recursion, 0
	.set _ZN7rocprim17ROCPRIM_400000_NS6detail17trampoline_kernelINS0_14default_configENS1_22reduce_config_selectorIfEEZNS1_11reduce_implILb1ES3_PfS7_fN6thrust23THRUST_200600_302600_NS4plusIfEEEE10hipError_tPvRmT1_T2_T3_mT4_P12ihipStream_tbEUlT_E1_NS1_11comp_targetILNS1_3genE2ELNS1_11target_archE906ELNS1_3gpuE6ELNS1_3repE0EEENS1_30default_config_static_selectorELNS0_4arch9wavefront6targetE0EEEvSF_.has_indirect_call, 0
	.section	.AMDGPU.csdata,"",@progbits
; Kernel info:
; codeLenInByte = 0
; TotalNumSgprs: 0
; NumVgprs: 0
; ScratchSize: 0
; MemoryBound: 0
; FloatMode: 240
; IeeeMode: 1
; LDSByteSize: 0 bytes/workgroup (compile time only)
; SGPRBlocks: 0
; VGPRBlocks: 0
; NumSGPRsForWavesPerEU: 1
; NumVGPRsForWavesPerEU: 1
; NamedBarCnt: 0
; Occupancy: 16
; WaveLimiterHint : 0
; COMPUTE_PGM_RSRC2:SCRATCH_EN: 0
; COMPUTE_PGM_RSRC2:USER_SGPR: 2
; COMPUTE_PGM_RSRC2:TRAP_HANDLER: 0
; COMPUTE_PGM_RSRC2:TGID_X_EN: 1
; COMPUTE_PGM_RSRC2:TGID_Y_EN: 0
; COMPUTE_PGM_RSRC2:TGID_Z_EN: 0
; COMPUTE_PGM_RSRC2:TIDIG_COMP_CNT: 0
	.section	.text._ZN7rocprim17ROCPRIM_400000_NS6detail17trampoline_kernelINS0_14default_configENS1_22reduce_config_selectorIfEEZNS1_11reduce_implILb1ES3_PfS7_fN6thrust23THRUST_200600_302600_NS4plusIfEEEE10hipError_tPvRmT1_T2_T3_mT4_P12ihipStream_tbEUlT_E1_NS1_11comp_targetILNS1_3genE10ELNS1_11target_archE1201ELNS1_3gpuE5ELNS1_3repE0EEENS1_30default_config_static_selectorELNS0_4arch9wavefront6targetE0EEEvSF_,"axG",@progbits,_ZN7rocprim17ROCPRIM_400000_NS6detail17trampoline_kernelINS0_14default_configENS1_22reduce_config_selectorIfEEZNS1_11reduce_implILb1ES3_PfS7_fN6thrust23THRUST_200600_302600_NS4plusIfEEEE10hipError_tPvRmT1_T2_T3_mT4_P12ihipStream_tbEUlT_E1_NS1_11comp_targetILNS1_3genE10ELNS1_11target_archE1201ELNS1_3gpuE5ELNS1_3repE0EEENS1_30default_config_static_selectorELNS0_4arch9wavefront6targetE0EEEvSF_,comdat
	.protected	_ZN7rocprim17ROCPRIM_400000_NS6detail17trampoline_kernelINS0_14default_configENS1_22reduce_config_selectorIfEEZNS1_11reduce_implILb1ES3_PfS7_fN6thrust23THRUST_200600_302600_NS4plusIfEEEE10hipError_tPvRmT1_T2_T3_mT4_P12ihipStream_tbEUlT_E1_NS1_11comp_targetILNS1_3genE10ELNS1_11target_archE1201ELNS1_3gpuE5ELNS1_3repE0EEENS1_30default_config_static_selectorELNS0_4arch9wavefront6targetE0EEEvSF_ ; -- Begin function _ZN7rocprim17ROCPRIM_400000_NS6detail17trampoline_kernelINS0_14default_configENS1_22reduce_config_selectorIfEEZNS1_11reduce_implILb1ES3_PfS7_fN6thrust23THRUST_200600_302600_NS4plusIfEEEE10hipError_tPvRmT1_T2_T3_mT4_P12ihipStream_tbEUlT_E1_NS1_11comp_targetILNS1_3genE10ELNS1_11target_archE1201ELNS1_3gpuE5ELNS1_3repE0EEENS1_30default_config_static_selectorELNS0_4arch9wavefront6targetE0EEEvSF_
	.globl	_ZN7rocprim17ROCPRIM_400000_NS6detail17trampoline_kernelINS0_14default_configENS1_22reduce_config_selectorIfEEZNS1_11reduce_implILb1ES3_PfS7_fN6thrust23THRUST_200600_302600_NS4plusIfEEEE10hipError_tPvRmT1_T2_T3_mT4_P12ihipStream_tbEUlT_E1_NS1_11comp_targetILNS1_3genE10ELNS1_11target_archE1201ELNS1_3gpuE5ELNS1_3repE0EEENS1_30default_config_static_selectorELNS0_4arch9wavefront6targetE0EEEvSF_
	.p2align	8
	.type	_ZN7rocprim17ROCPRIM_400000_NS6detail17trampoline_kernelINS0_14default_configENS1_22reduce_config_selectorIfEEZNS1_11reduce_implILb1ES3_PfS7_fN6thrust23THRUST_200600_302600_NS4plusIfEEEE10hipError_tPvRmT1_T2_T3_mT4_P12ihipStream_tbEUlT_E1_NS1_11comp_targetILNS1_3genE10ELNS1_11target_archE1201ELNS1_3gpuE5ELNS1_3repE0EEENS1_30default_config_static_selectorELNS0_4arch9wavefront6targetE0EEEvSF_,@function
_ZN7rocprim17ROCPRIM_400000_NS6detail17trampoline_kernelINS0_14default_configENS1_22reduce_config_selectorIfEEZNS1_11reduce_implILb1ES3_PfS7_fN6thrust23THRUST_200600_302600_NS4plusIfEEEE10hipError_tPvRmT1_T2_T3_mT4_P12ihipStream_tbEUlT_E1_NS1_11comp_targetILNS1_3genE10ELNS1_11target_archE1201ELNS1_3gpuE5ELNS1_3repE0EEENS1_30default_config_static_selectorELNS0_4arch9wavefront6targetE0EEEvSF_: ; @_ZN7rocprim17ROCPRIM_400000_NS6detail17trampoline_kernelINS0_14default_configENS1_22reduce_config_selectorIfEEZNS1_11reduce_implILb1ES3_PfS7_fN6thrust23THRUST_200600_302600_NS4plusIfEEEE10hipError_tPvRmT1_T2_T3_mT4_P12ihipStream_tbEUlT_E1_NS1_11comp_targetILNS1_3genE10ELNS1_11target_archE1201ELNS1_3gpuE5ELNS1_3repE0EEENS1_30default_config_static_selectorELNS0_4arch9wavefront6targetE0EEEvSF_
; %bb.0:
	.section	.rodata,"a",@progbits
	.p2align	6, 0x0
	.amdhsa_kernel _ZN7rocprim17ROCPRIM_400000_NS6detail17trampoline_kernelINS0_14default_configENS1_22reduce_config_selectorIfEEZNS1_11reduce_implILb1ES3_PfS7_fN6thrust23THRUST_200600_302600_NS4plusIfEEEE10hipError_tPvRmT1_T2_T3_mT4_P12ihipStream_tbEUlT_E1_NS1_11comp_targetILNS1_3genE10ELNS1_11target_archE1201ELNS1_3gpuE5ELNS1_3repE0EEENS1_30default_config_static_selectorELNS0_4arch9wavefront6targetE0EEEvSF_
		.amdhsa_group_segment_fixed_size 0
		.amdhsa_private_segment_fixed_size 0
		.amdhsa_kernarg_size 40
		.amdhsa_user_sgpr_count 2
		.amdhsa_user_sgpr_dispatch_ptr 0
		.amdhsa_user_sgpr_queue_ptr 0
		.amdhsa_user_sgpr_kernarg_segment_ptr 1
		.amdhsa_user_sgpr_dispatch_id 0
		.amdhsa_user_sgpr_kernarg_preload_length 0
		.amdhsa_user_sgpr_kernarg_preload_offset 0
		.amdhsa_user_sgpr_private_segment_size 0
		.amdhsa_wavefront_size32 1
		.amdhsa_uses_dynamic_stack 0
		.amdhsa_enable_private_segment 0
		.amdhsa_system_sgpr_workgroup_id_x 1
		.amdhsa_system_sgpr_workgroup_id_y 0
		.amdhsa_system_sgpr_workgroup_id_z 0
		.amdhsa_system_sgpr_workgroup_info 0
		.amdhsa_system_vgpr_workitem_id 0
		.amdhsa_next_free_vgpr 1
		.amdhsa_next_free_sgpr 1
		.amdhsa_named_barrier_count 0
		.amdhsa_reserve_vcc 0
		.amdhsa_float_round_mode_32 0
		.amdhsa_float_round_mode_16_64 0
		.amdhsa_float_denorm_mode_32 3
		.amdhsa_float_denorm_mode_16_64 3
		.amdhsa_fp16_overflow 0
		.amdhsa_memory_ordered 1
		.amdhsa_forward_progress 1
		.amdhsa_inst_pref_size 0
		.amdhsa_round_robin_scheduling 0
		.amdhsa_exception_fp_ieee_invalid_op 0
		.amdhsa_exception_fp_denorm_src 0
		.amdhsa_exception_fp_ieee_div_zero 0
		.amdhsa_exception_fp_ieee_overflow 0
		.amdhsa_exception_fp_ieee_underflow 0
		.amdhsa_exception_fp_ieee_inexact 0
		.amdhsa_exception_int_div_zero 0
	.end_amdhsa_kernel
	.section	.text._ZN7rocprim17ROCPRIM_400000_NS6detail17trampoline_kernelINS0_14default_configENS1_22reduce_config_selectorIfEEZNS1_11reduce_implILb1ES3_PfS7_fN6thrust23THRUST_200600_302600_NS4plusIfEEEE10hipError_tPvRmT1_T2_T3_mT4_P12ihipStream_tbEUlT_E1_NS1_11comp_targetILNS1_3genE10ELNS1_11target_archE1201ELNS1_3gpuE5ELNS1_3repE0EEENS1_30default_config_static_selectorELNS0_4arch9wavefront6targetE0EEEvSF_,"axG",@progbits,_ZN7rocprim17ROCPRIM_400000_NS6detail17trampoline_kernelINS0_14default_configENS1_22reduce_config_selectorIfEEZNS1_11reduce_implILb1ES3_PfS7_fN6thrust23THRUST_200600_302600_NS4plusIfEEEE10hipError_tPvRmT1_T2_T3_mT4_P12ihipStream_tbEUlT_E1_NS1_11comp_targetILNS1_3genE10ELNS1_11target_archE1201ELNS1_3gpuE5ELNS1_3repE0EEENS1_30default_config_static_selectorELNS0_4arch9wavefront6targetE0EEEvSF_,comdat
.Lfunc_end14:
	.size	_ZN7rocprim17ROCPRIM_400000_NS6detail17trampoline_kernelINS0_14default_configENS1_22reduce_config_selectorIfEEZNS1_11reduce_implILb1ES3_PfS7_fN6thrust23THRUST_200600_302600_NS4plusIfEEEE10hipError_tPvRmT1_T2_T3_mT4_P12ihipStream_tbEUlT_E1_NS1_11comp_targetILNS1_3genE10ELNS1_11target_archE1201ELNS1_3gpuE5ELNS1_3repE0EEENS1_30default_config_static_selectorELNS0_4arch9wavefront6targetE0EEEvSF_, .Lfunc_end14-_ZN7rocprim17ROCPRIM_400000_NS6detail17trampoline_kernelINS0_14default_configENS1_22reduce_config_selectorIfEEZNS1_11reduce_implILb1ES3_PfS7_fN6thrust23THRUST_200600_302600_NS4plusIfEEEE10hipError_tPvRmT1_T2_T3_mT4_P12ihipStream_tbEUlT_E1_NS1_11comp_targetILNS1_3genE10ELNS1_11target_archE1201ELNS1_3gpuE5ELNS1_3repE0EEENS1_30default_config_static_selectorELNS0_4arch9wavefront6targetE0EEEvSF_
                                        ; -- End function
	.set _ZN7rocprim17ROCPRIM_400000_NS6detail17trampoline_kernelINS0_14default_configENS1_22reduce_config_selectorIfEEZNS1_11reduce_implILb1ES3_PfS7_fN6thrust23THRUST_200600_302600_NS4plusIfEEEE10hipError_tPvRmT1_T2_T3_mT4_P12ihipStream_tbEUlT_E1_NS1_11comp_targetILNS1_3genE10ELNS1_11target_archE1201ELNS1_3gpuE5ELNS1_3repE0EEENS1_30default_config_static_selectorELNS0_4arch9wavefront6targetE0EEEvSF_.num_vgpr, 0
	.set _ZN7rocprim17ROCPRIM_400000_NS6detail17trampoline_kernelINS0_14default_configENS1_22reduce_config_selectorIfEEZNS1_11reduce_implILb1ES3_PfS7_fN6thrust23THRUST_200600_302600_NS4plusIfEEEE10hipError_tPvRmT1_T2_T3_mT4_P12ihipStream_tbEUlT_E1_NS1_11comp_targetILNS1_3genE10ELNS1_11target_archE1201ELNS1_3gpuE5ELNS1_3repE0EEENS1_30default_config_static_selectorELNS0_4arch9wavefront6targetE0EEEvSF_.num_agpr, 0
	.set _ZN7rocprim17ROCPRIM_400000_NS6detail17trampoline_kernelINS0_14default_configENS1_22reduce_config_selectorIfEEZNS1_11reduce_implILb1ES3_PfS7_fN6thrust23THRUST_200600_302600_NS4plusIfEEEE10hipError_tPvRmT1_T2_T3_mT4_P12ihipStream_tbEUlT_E1_NS1_11comp_targetILNS1_3genE10ELNS1_11target_archE1201ELNS1_3gpuE5ELNS1_3repE0EEENS1_30default_config_static_selectorELNS0_4arch9wavefront6targetE0EEEvSF_.numbered_sgpr, 0
	.set _ZN7rocprim17ROCPRIM_400000_NS6detail17trampoline_kernelINS0_14default_configENS1_22reduce_config_selectorIfEEZNS1_11reduce_implILb1ES3_PfS7_fN6thrust23THRUST_200600_302600_NS4plusIfEEEE10hipError_tPvRmT1_T2_T3_mT4_P12ihipStream_tbEUlT_E1_NS1_11comp_targetILNS1_3genE10ELNS1_11target_archE1201ELNS1_3gpuE5ELNS1_3repE0EEENS1_30default_config_static_selectorELNS0_4arch9wavefront6targetE0EEEvSF_.num_named_barrier, 0
	.set _ZN7rocprim17ROCPRIM_400000_NS6detail17trampoline_kernelINS0_14default_configENS1_22reduce_config_selectorIfEEZNS1_11reduce_implILb1ES3_PfS7_fN6thrust23THRUST_200600_302600_NS4plusIfEEEE10hipError_tPvRmT1_T2_T3_mT4_P12ihipStream_tbEUlT_E1_NS1_11comp_targetILNS1_3genE10ELNS1_11target_archE1201ELNS1_3gpuE5ELNS1_3repE0EEENS1_30default_config_static_selectorELNS0_4arch9wavefront6targetE0EEEvSF_.private_seg_size, 0
	.set _ZN7rocprim17ROCPRIM_400000_NS6detail17trampoline_kernelINS0_14default_configENS1_22reduce_config_selectorIfEEZNS1_11reduce_implILb1ES3_PfS7_fN6thrust23THRUST_200600_302600_NS4plusIfEEEE10hipError_tPvRmT1_T2_T3_mT4_P12ihipStream_tbEUlT_E1_NS1_11comp_targetILNS1_3genE10ELNS1_11target_archE1201ELNS1_3gpuE5ELNS1_3repE0EEENS1_30default_config_static_selectorELNS0_4arch9wavefront6targetE0EEEvSF_.uses_vcc, 0
	.set _ZN7rocprim17ROCPRIM_400000_NS6detail17trampoline_kernelINS0_14default_configENS1_22reduce_config_selectorIfEEZNS1_11reduce_implILb1ES3_PfS7_fN6thrust23THRUST_200600_302600_NS4plusIfEEEE10hipError_tPvRmT1_T2_T3_mT4_P12ihipStream_tbEUlT_E1_NS1_11comp_targetILNS1_3genE10ELNS1_11target_archE1201ELNS1_3gpuE5ELNS1_3repE0EEENS1_30default_config_static_selectorELNS0_4arch9wavefront6targetE0EEEvSF_.uses_flat_scratch, 0
	.set _ZN7rocprim17ROCPRIM_400000_NS6detail17trampoline_kernelINS0_14default_configENS1_22reduce_config_selectorIfEEZNS1_11reduce_implILb1ES3_PfS7_fN6thrust23THRUST_200600_302600_NS4plusIfEEEE10hipError_tPvRmT1_T2_T3_mT4_P12ihipStream_tbEUlT_E1_NS1_11comp_targetILNS1_3genE10ELNS1_11target_archE1201ELNS1_3gpuE5ELNS1_3repE0EEENS1_30default_config_static_selectorELNS0_4arch9wavefront6targetE0EEEvSF_.has_dyn_sized_stack, 0
	.set _ZN7rocprim17ROCPRIM_400000_NS6detail17trampoline_kernelINS0_14default_configENS1_22reduce_config_selectorIfEEZNS1_11reduce_implILb1ES3_PfS7_fN6thrust23THRUST_200600_302600_NS4plusIfEEEE10hipError_tPvRmT1_T2_T3_mT4_P12ihipStream_tbEUlT_E1_NS1_11comp_targetILNS1_3genE10ELNS1_11target_archE1201ELNS1_3gpuE5ELNS1_3repE0EEENS1_30default_config_static_selectorELNS0_4arch9wavefront6targetE0EEEvSF_.has_recursion, 0
	.set _ZN7rocprim17ROCPRIM_400000_NS6detail17trampoline_kernelINS0_14default_configENS1_22reduce_config_selectorIfEEZNS1_11reduce_implILb1ES3_PfS7_fN6thrust23THRUST_200600_302600_NS4plusIfEEEE10hipError_tPvRmT1_T2_T3_mT4_P12ihipStream_tbEUlT_E1_NS1_11comp_targetILNS1_3genE10ELNS1_11target_archE1201ELNS1_3gpuE5ELNS1_3repE0EEENS1_30default_config_static_selectorELNS0_4arch9wavefront6targetE0EEEvSF_.has_indirect_call, 0
	.section	.AMDGPU.csdata,"",@progbits
; Kernel info:
; codeLenInByte = 0
; TotalNumSgprs: 0
; NumVgprs: 0
; ScratchSize: 0
; MemoryBound: 0
; FloatMode: 240
; IeeeMode: 1
; LDSByteSize: 0 bytes/workgroup (compile time only)
; SGPRBlocks: 0
; VGPRBlocks: 0
; NumSGPRsForWavesPerEU: 1
; NumVGPRsForWavesPerEU: 1
; NamedBarCnt: 0
; Occupancy: 16
; WaveLimiterHint : 0
; COMPUTE_PGM_RSRC2:SCRATCH_EN: 0
; COMPUTE_PGM_RSRC2:USER_SGPR: 2
; COMPUTE_PGM_RSRC2:TRAP_HANDLER: 0
; COMPUTE_PGM_RSRC2:TGID_X_EN: 1
; COMPUTE_PGM_RSRC2:TGID_Y_EN: 0
; COMPUTE_PGM_RSRC2:TGID_Z_EN: 0
; COMPUTE_PGM_RSRC2:TIDIG_COMP_CNT: 0
	.section	.text._ZN7rocprim17ROCPRIM_400000_NS6detail17trampoline_kernelINS0_14default_configENS1_22reduce_config_selectorIfEEZNS1_11reduce_implILb1ES3_PfS7_fN6thrust23THRUST_200600_302600_NS4plusIfEEEE10hipError_tPvRmT1_T2_T3_mT4_P12ihipStream_tbEUlT_E1_NS1_11comp_targetILNS1_3genE10ELNS1_11target_archE1200ELNS1_3gpuE4ELNS1_3repE0EEENS1_30default_config_static_selectorELNS0_4arch9wavefront6targetE0EEEvSF_,"axG",@progbits,_ZN7rocprim17ROCPRIM_400000_NS6detail17trampoline_kernelINS0_14default_configENS1_22reduce_config_selectorIfEEZNS1_11reduce_implILb1ES3_PfS7_fN6thrust23THRUST_200600_302600_NS4plusIfEEEE10hipError_tPvRmT1_T2_T3_mT4_P12ihipStream_tbEUlT_E1_NS1_11comp_targetILNS1_3genE10ELNS1_11target_archE1200ELNS1_3gpuE4ELNS1_3repE0EEENS1_30default_config_static_selectorELNS0_4arch9wavefront6targetE0EEEvSF_,comdat
	.protected	_ZN7rocprim17ROCPRIM_400000_NS6detail17trampoline_kernelINS0_14default_configENS1_22reduce_config_selectorIfEEZNS1_11reduce_implILb1ES3_PfS7_fN6thrust23THRUST_200600_302600_NS4plusIfEEEE10hipError_tPvRmT1_T2_T3_mT4_P12ihipStream_tbEUlT_E1_NS1_11comp_targetILNS1_3genE10ELNS1_11target_archE1200ELNS1_3gpuE4ELNS1_3repE0EEENS1_30default_config_static_selectorELNS0_4arch9wavefront6targetE0EEEvSF_ ; -- Begin function _ZN7rocprim17ROCPRIM_400000_NS6detail17trampoline_kernelINS0_14default_configENS1_22reduce_config_selectorIfEEZNS1_11reduce_implILb1ES3_PfS7_fN6thrust23THRUST_200600_302600_NS4plusIfEEEE10hipError_tPvRmT1_T2_T3_mT4_P12ihipStream_tbEUlT_E1_NS1_11comp_targetILNS1_3genE10ELNS1_11target_archE1200ELNS1_3gpuE4ELNS1_3repE0EEENS1_30default_config_static_selectorELNS0_4arch9wavefront6targetE0EEEvSF_
	.globl	_ZN7rocprim17ROCPRIM_400000_NS6detail17trampoline_kernelINS0_14default_configENS1_22reduce_config_selectorIfEEZNS1_11reduce_implILb1ES3_PfS7_fN6thrust23THRUST_200600_302600_NS4plusIfEEEE10hipError_tPvRmT1_T2_T3_mT4_P12ihipStream_tbEUlT_E1_NS1_11comp_targetILNS1_3genE10ELNS1_11target_archE1200ELNS1_3gpuE4ELNS1_3repE0EEENS1_30default_config_static_selectorELNS0_4arch9wavefront6targetE0EEEvSF_
	.p2align	8
	.type	_ZN7rocprim17ROCPRIM_400000_NS6detail17trampoline_kernelINS0_14default_configENS1_22reduce_config_selectorIfEEZNS1_11reduce_implILb1ES3_PfS7_fN6thrust23THRUST_200600_302600_NS4plusIfEEEE10hipError_tPvRmT1_T2_T3_mT4_P12ihipStream_tbEUlT_E1_NS1_11comp_targetILNS1_3genE10ELNS1_11target_archE1200ELNS1_3gpuE4ELNS1_3repE0EEENS1_30default_config_static_selectorELNS0_4arch9wavefront6targetE0EEEvSF_,@function
_ZN7rocprim17ROCPRIM_400000_NS6detail17trampoline_kernelINS0_14default_configENS1_22reduce_config_selectorIfEEZNS1_11reduce_implILb1ES3_PfS7_fN6thrust23THRUST_200600_302600_NS4plusIfEEEE10hipError_tPvRmT1_T2_T3_mT4_P12ihipStream_tbEUlT_E1_NS1_11comp_targetILNS1_3genE10ELNS1_11target_archE1200ELNS1_3gpuE4ELNS1_3repE0EEENS1_30default_config_static_selectorELNS0_4arch9wavefront6targetE0EEEvSF_: ; @_ZN7rocprim17ROCPRIM_400000_NS6detail17trampoline_kernelINS0_14default_configENS1_22reduce_config_selectorIfEEZNS1_11reduce_implILb1ES3_PfS7_fN6thrust23THRUST_200600_302600_NS4plusIfEEEE10hipError_tPvRmT1_T2_T3_mT4_P12ihipStream_tbEUlT_E1_NS1_11comp_targetILNS1_3genE10ELNS1_11target_archE1200ELNS1_3gpuE4ELNS1_3repE0EEENS1_30default_config_static_selectorELNS0_4arch9wavefront6targetE0EEEvSF_
; %bb.0:
	.section	.rodata,"a",@progbits
	.p2align	6, 0x0
	.amdhsa_kernel _ZN7rocprim17ROCPRIM_400000_NS6detail17trampoline_kernelINS0_14default_configENS1_22reduce_config_selectorIfEEZNS1_11reduce_implILb1ES3_PfS7_fN6thrust23THRUST_200600_302600_NS4plusIfEEEE10hipError_tPvRmT1_T2_T3_mT4_P12ihipStream_tbEUlT_E1_NS1_11comp_targetILNS1_3genE10ELNS1_11target_archE1200ELNS1_3gpuE4ELNS1_3repE0EEENS1_30default_config_static_selectorELNS0_4arch9wavefront6targetE0EEEvSF_
		.amdhsa_group_segment_fixed_size 0
		.amdhsa_private_segment_fixed_size 0
		.amdhsa_kernarg_size 40
		.amdhsa_user_sgpr_count 2
		.amdhsa_user_sgpr_dispatch_ptr 0
		.amdhsa_user_sgpr_queue_ptr 0
		.amdhsa_user_sgpr_kernarg_segment_ptr 1
		.amdhsa_user_sgpr_dispatch_id 0
		.amdhsa_user_sgpr_kernarg_preload_length 0
		.amdhsa_user_sgpr_kernarg_preload_offset 0
		.amdhsa_user_sgpr_private_segment_size 0
		.amdhsa_wavefront_size32 1
		.amdhsa_uses_dynamic_stack 0
		.amdhsa_enable_private_segment 0
		.amdhsa_system_sgpr_workgroup_id_x 1
		.amdhsa_system_sgpr_workgroup_id_y 0
		.amdhsa_system_sgpr_workgroup_id_z 0
		.amdhsa_system_sgpr_workgroup_info 0
		.amdhsa_system_vgpr_workitem_id 0
		.amdhsa_next_free_vgpr 1
		.amdhsa_next_free_sgpr 1
		.amdhsa_named_barrier_count 0
		.amdhsa_reserve_vcc 0
		.amdhsa_float_round_mode_32 0
		.amdhsa_float_round_mode_16_64 0
		.amdhsa_float_denorm_mode_32 3
		.amdhsa_float_denorm_mode_16_64 3
		.amdhsa_fp16_overflow 0
		.amdhsa_memory_ordered 1
		.amdhsa_forward_progress 1
		.amdhsa_inst_pref_size 0
		.amdhsa_round_robin_scheduling 0
		.amdhsa_exception_fp_ieee_invalid_op 0
		.amdhsa_exception_fp_denorm_src 0
		.amdhsa_exception_fp_ieee_div_zero 0
		.amdhsa_exception_fp_ieee_overflow 0
		.amdhsa_exception_fp_ieee_underflow 0
		.amdhsa_exception_fp_ieee_inexact 0
		.amdhsa_exception_int_div_zero 0
	.end_amdhsa_kernel
	.section	.text._ZN7rocprim17ROCPRIM_400000_NS6detail17trampoline_kernelINS0_14default_configENS1_22reduce_config_selectorIfEEZNS1_11reduce_implILb1ES3_PfS7_fN6thrust23THRUST_200600_302600_NS4plusIfEEEE10hipError_tPvRmT1_T2_T3_mT4_P12ihipStream_tbEUlT_E1_NS1_11comp_targetILNS1_3genE10ELNS1_11target_archE1200ELNS1_3gpuE4ELNS1_3repE0EEENS1_30default_config_static_selectorELNS0_4arch9wavefront6targetE0EEEvSF_,"axG",@progbits,_ZN7rocprim17ROCPRIM_400000_NS6detail17trampoline_kernelINS0_14default_configENS1_22reduce_config_selectorIfEEZNS1_11reduce_implILb1ES3_PfS7_fN6thrust23THRUST_200600_302600_NS4plusIfEEEE10hipError_tPvRmT1_T2_T3_mT4_P12ihipStream_tbEUlT_E1_NS1_11comp_targetILNS1_3genE10ELNS1_11target_archE1200ELNS1_3gpuE4ELNS1_3repE0EEENS1_30default_config_static_selectorELNS0_4arch9wavefront6targetE0EEEvSF_,comdat
.Lfunc_end15:
	.size	_ZN7rocprim17ROCPRIM_400000_NS6detail17trampoline_kernelINS0_14default_configENS1_22reduce_config_selectorIfEEZNS1_11reduce_implILb1ES3_PfS7_fN6thrust23THRUST_200600_302600_NS4plusIfEEEE10hipError_tPvRmT1_T2_T3_mT4_P12ihipStream_tbEUlT_E1_NS1_11comp_targetILNS1_3genE10ELNS1_11target_archE1200ELNS1_3gpuE4ELNS1_3repE0EEENS1_30default_config_static_selectorELNS0_4arch9wavefront6targetE0EEEvSF_, .Lfunc_end15-_ZN7rocprim17ROCPRIM_400000_NS6detail17trampoline_kernelINS0_14default_configENS1_22reduce_config_selectorIfEEZNS1_11reduce_implILb1ES3_PfS7_fN6thrust23THRUST_200600_302600_NS4plusIfEEEE10hipError_tPvRmT1_T2_T3_mT4_P12ihipStream_tbEUlT_E1_NS1_11comp_targetILNS1_3genE10ELNS1_11target_archE1200ELNS1_3gpuE4ELNS1_3repE0EEENS1_30default_config_static_selectorELNS0_4arch9wavefront6targetE0EEEvSF_
                                        ; -- End function
	.set _ZN7rocprim17ROCPRIM_400000_NS6detail17trampoline_kernelINS0_14default_configENS1_22reduce_config_selectorIfEEZNS1_11reduce_implILb1ES3_PfS7_fN6thrust23THRUST_200600_302600_NS4plusIfEEEE10hipError_tPvRmT1_T2_T3_mT4_P12ihipStream_tbEUlT_E1_NS1_11comp_targetILNS1_3genE10ELNS1_11target_archE1200ELNS1_3gpuE4ELNS1_3repE0EEENS1_30default_config_static_selectorELNS0_4arch9wavefront6targetE0EEEvSF_.num_vgpr, 0
	.set _ZN7rocprim17ROCPRIM_400000_NS6detail17trampoline_kernelINS0_14default_configENS1_22reduce_config_selectorIfEEZNS1_11reduce_implILb1ES3_PfS7_fN6thrust23THRUST_200600_302600_NS4plusIfEEEE10hipError_tPvRmT1_T2_T3_mT4_P12ihipStream_tbEUlT_E1_NS1_11comp_targetILNS1_3genE10ELNS1_11target_archE1200ELNS1_3gpuE4ELNS1_3repE0EEENS1_30default_config_static_selectorELNS0_4arch9wavefront6targetE0EEEvSF_.num_agpr, 0
	.set _ZN7rocprim17ROCPRIM_400000_NS6detail17trampoline_kernelINS0_14default_configENS1_22reduce_config_selectorIfEEZNS1_11reduce_implILb1ES3_PfS7_fN6thrust23THRUST_200600_302600_NS4plusIfEEEE10hipError_tPvRmT1_T2_T3_mT4_P12ihipStream_tbEUlT_E1_NS1_11comp_targetILNS1_3genE10ELNS1_11target_archE1200ELNS1_3gpuE4ELNS1_3repE0EEENS1_30default_config_static_selectorELNS0_4arch9wavefront6targetE0EEEvSF_.numbered_sgpr, 0
	.set _ZN7rocprim17ROCPRIM_400000_NS6detail17trampoline_kernelINS0_14default_configENS1_22reduce_config_selectorIfEEZNS1_11reduce_implILb1ES3_PfS7_fN6thrust23THRUST_200600_302600_NS4plusIfEEEE10hipError_tPvRmT1_T2_T3_mT4_P12ihipStream_tbEUlT_E1_NS1_11comp_targetILNS1_3genE10ELNS1_11target_archE1200ELNS1_3gpuE4ELNS1_3repE0EEENS1_30default_config_static_selectorELNS0_4arch9wavefront6targetE0EEEvSF_.num_named_barrier, 0
	.set _ZN7rocprim17ROCPRIM_400000_NS6detail17trampoline_kernelINS0_14default_configENS1_22reduce_config_selectorIfEEZNS1_11reduce_implILb1ES3_PfS7_fN6thrust23THRUST_200600_302600_NS4plusIfEEEE10hipError_tPvRmT1_T2_T3_mT4_P12ihipStream_tbEUlT_E1_NS1_11comp_targetILNS1_3genE10ELNS1_11target_archE1200ELNS1_3gpuE4ELNS1_3repE0EEENS1_30default_config_static_selectorELNS0_4arch9wavefront6targetE0EEEvSF_.private_seg_size, 0
	.set _ZN7rocprim17ROCPRIM_400000_NS6detail17trampoline_kernelINS0_14default_configENS1_22reduce_config_selectorIfEEZNS1_11reduce_implILb1ES3_PfS7_fN6thrust23THRUST_200600_302600_NS4plusIfEEEE10hipError_tPvRmT1_T2_T3_mT4_P12ihipStream_tbEUlT_E1_NS1_11comp_targetILNS1_3genE10ELNS1_11target_archE1200ELNS1_3gpuE4ELNS1_3repE0EEENS1_30default_config_static_selectorELNS0_4arch9wavefront6targetE0EEEvSF_.uses_vcc, 0
	.set _ZN7rocprim17ROCPRIM_400000_NS6detail17trampoline_kernelINS0_14default_configENS1_22reduce_config_selectorIfEEZNS1_11reduce_implILb1ES3_PfS7_fN6thrust23THRUST_200600_302600_NS4plusIfEEEE10hipError_tPvRmT1_T2_T3_mT4_P12ihipStream_tbEUlT_E1_NS1_11comp_targetILNS1_3genE10ELNS1_11target_archE1200ELNS1_3gpuE4ELNS1_3repE0EEENS1_30default_config_static_selectorELNS0_4arch9wavefront6targetE0EEEvSF_.uses_flat_scratch, 0
	.set _ZN7rocprim17ROCPRIM_400000_NS6detail17trampoline_kernelINS0_14default_configENS1_22reduce_config_selectorIfEEZNS1_11reduce_implILb1ES3_PfS7_fN6thrust23THRUST_200600_302600_NS4plusIfEEEE10hipError_tPvRmT1_T2_T3_mT4_P12ihipStream_tbEUlT_E1_NS1_11comp_targetILNS1_3genE10ELNS1_11target_archE1200ELNS1_3gpuE4ELNS1_3repE0EEENS1_30default_config_static_selectorELNS0_4arch9wavefront6targetE0EEEvSF_.has_dyn_sized_stack, 0
	.set _ZN7rocprim17ROCPRIM_400000_NS6detail17trampoline_kernelINS0_14default_configENS1_22reduce_config_selectorIfEEZNS1_11reduce_implILb1ES3_PfS7_fN6thrust23THRUST_200600_302600_NS4plusIfEEEE10hipError_tPvRmT1_T2_T3_mT4_P12ihipStream_tbEUlT_E1_NS1_11comp_targetILNS1_3genE10ELNS1_11target_archE1200ELNS1_3gpuE4ELNS1_3repE0EEENS1_30default_config_static_selectorELNS0_4arch9wavefront6targetE0EEEvSF_.has_recursion, 0
	.set _ZN7rocprim17ROCPRIM_400000_NS6detail17trampoline_kernelINS0_14default_configENS1_22reduce_config_selectorIfEEZNS1_11reduce_implILb1ES3_PfS7_fN6thrust23THRUST_200600_302600_NS4plusIfEEEE10hipError_tPvRmT1_T2_T3_mT4_P12ihipStream_tbEUlT_E1_NS1_11comp_targetILNS1_3genE10ELNS1_11target_archE1200ELNS1_3gpuE4ELNS1_3repE0EEENS1_30default_config_static_selectorELNS0_4arch9wavefront6targetE0EEEvSF_.has_indirect_call, 0
	.section	.AMDGPU.csdata,"",@progbits
; Kernel info:
; codeLenInByte = 0
; TotalNumSgprs: 0
; NumVgprs: 0
; ScratchSize: 0
; MemoryBound: 0
; FloatMode: 240
; IeeeMode: 1
; LDSByteSize: 0 bytes/workgroup (compile time only)
; SGPRBlocks: 0
; VGPRBlocks: 0
; NumSGPRsForWavesPerEU: 1
; NumVGPRsForWavesPerEU: 1
; NamedBarCnt: 0
; Occupancy: 16
; WaveLimiterHint : 0
; COMPUTE_PGM_RSRC2:SCRATCH_EN: 0
; COMPUTE_PGM_RSRC2:USER_SGPR: 2
; COMPUTE_PGM_RSRC2:TRAP_HANDLER: 0
; COMPUTE_PGM_RSRC2:TGID_X_EN: 1
; COMPUTE_PGM_RSRC2:TGID_Y_EN: 0
; COMPUTE_PGM_RSRC2:TGID_Z_EN: 0
; COMPUTE_PGM_RSRC2:TIDIG_COMP_CNT: 0
	.section	.text._ZN7rocprim17ROCPRIM_400000_NS6detail17trampoline_kernelINS0_14default_configENS1_22reduce_config_selectorIfEEZNS1_11reduce_implILb1ES3_PfS7_fN6thrust23THRUST_200600_302600_NS4plusIfEEEE10hipError_tPvRmT1_T2_T3_mT4_P12ihipStream_tbEUlT_E1_NS1_11comp_targetILNS1_3genE9ELNS1_11target_archE1100ELNS1_3gpuE3ELNS1_3repE0EEENS1_30default_config_static_selectorELNS0_4arch9wavefront6targetE0EEEvSF_,"axG",@progbits,_ZN7rocprim17ROCPRIM_400000_NS6detail17trampoline_kernelINS0_14default_configENS1_22reduce_config_selectorIfEEZNS1_11reduce_implILb1ES3_PfS7_fN6thrust23THRUST_200600_302600_NS4plusIfEEEE10hipError_tPvRmT1_T2_T3_mT4_P12ihipStream_tbEUlT_E1_NS1_11comp_targetILNS1_3genE9ELNS1_11target_archE1100ELNS1_3gpuE3ELNS1_3repE0EEENS1_30default_config_static_selectorELNS0_4arch9wavefront6targetE0EEEvSF_,comdat
	.protected	_ZN7rocprim17ROCPRIM_400000_NS6detail17trampoline_kernelINS0_14default_configENS1_22reduce_config_selectorIfEEZNS1_11reduce_implILb1ES3_PfS7_fN6thrust23THRUST_200600_302600_NS4plusIfEEEE10hipError_tPvRmT1_T2_T3_mT4_P12ihipStream_tbEUlT_E1_NS1_11comp_targetILNS1_3genE9ELNS1_11target_archE1100ELNS1_3gpuE3ELNS1_3repE0EEENS1_30default_config_static_selectorELNS0_4arch9wavefront6targetE0EEEvSF_ ; -- Begin function _ZN7rocprim17ROCPRIM_400000_NS6detail17trampoline_kernelINS0_14default_configENS1_22reduce_config_selectorIfEEZNS1_11reduce_implILb1ES3_PfS7_fN6thrust23THRUST_200600_302600_NS4plusIfEEEE10hipError_tPvRmT1_T2_T3_mT4_P12ihipStream_tbEUlT_E1_NS1_11comp_targetILNS1_3genE9ELNS1_11target_archE1100ELNS1_3gpuE3ELNS1_3repE0EEENS1_30default_config_static_selectorELNS0_4arch9wavefront6targetE0EEEvSF_
	.globl	_ZN7rocprim17ROCPRIM_400000_NS6detail17trampoline_kernelINS0_14default_configENS1_22reduce_config_selectorIfEEZNS1_11reduce_implILb1ES3_PfS7_fN6thrust23THRUST_200600_302600_NS4plusIfEEEE10hipError_tPvRmT1_T2_T3_mT4_P12ihipStream_tbEUlT_E1_NS1_11comp_targetILNS1_3genE9ELNS1_11target_archE1100ELNS1_3gpuE3ELNS1_3repE0EEENS1_30default_config_static_selectorELNS0_4arch9wavefront6targetE0EEEvSF_
	.p2align	8
	.type	_ZN7rocprim17ROCPRIM_400000_NS6detail17trampoline_kernelINS0_14default_configENS1_22reduce_config_selectorIfEEZNS1_11reduce_implILb1ES3_PfS7_fN6thrust23THRUST_200600_302600_NS4plusIfEEEE10hipError_tPvRmT1_T2_T3_mT4_P12ihipStream_tbEUlT_E1_NS1_11comp_targetILNS1_3genE9ELNS1_11target_archE1100ELNS1_3gpuE3ELNS1_3repE0EEENS1_30default_config_static_selectorELNS0_4arch9wavefront6targetE0EEEvSF_,@function
_ZN7rocprim17ROCPRIM_400000_NS6detail17trampoline_kernelINS0_14default_configENS1_22reduce_config_selectorIfEEZNS1_11reduce_implILb1ES3_PfS7_fN6thrust23THRUST_200600_302600_NS4plusIfEEEE10hipError_tPvRmT1_T2_T3_mT4_P12ihipStream_tbEUlT_E1_NS1_11comp_targetILNS1_3genE9ELNS1_11target_archE1100ELNS1_3gpuE3ELNS1_3repE0EEENS1_30default_config_static_selectorELNS0_4arch9wavefront6targetE0EEEvSF_: ; @_ZN7rocprim17ROCPRIM_400000_NS6detail17trampoline_kernelINS0_14default_configENS1_22reduce_config_selectorIfEEZNS1_11reduce_implILb1ES3_PfS7_fN6thrust23THRUST_200600_302600_NS4plusIfEEEE10hipError_tPvRmT1_T2_T3_mT4_P12ihipStream_tbEUlT_E1_NS1_11comp_targetILNS1_3genE9ELNS1_11target_archE1100ELNS1_3gpuE3ELNS1_3repE0EEENS1_30default_config_static_selectorELNS0_4arch9wavefront6targetE0EEEvSF_
; %bb.0:
	.section	.rodata,"a",@progbits
	.p2align	6, 0x0
	.amdhsa_kernel _ZN7rocprim17ROCPRIM_400000_NS6detail17trampoline_kernelINS0_14default_configENS1_22reduce_config_selectorIfEEZNS1_11reduce_implILb1ES3_PfS7_fN6thrust23THRUST_200600_302600_NS4plusIfEEEE10hipError_tPvRmT1_T2_T3_mT4_P12ihipStream_tbEUlT_E1_NS1_11comp_targetILNS1_3genE9ELNS1_11target_archE1100ELNS1_3gpuE3ELNS1_3repE0EEENS1_30default_config_static_selectorELNS0_4arch9wavefront6targetE0EEEvSF_
		.amdhsa_group_segment_fixed_size 0
		.amdhsa_private_segment_fixed_size 0
		.amdhsa_kernarg_size 40
		.amdhsa_user_sgpr_count 2
		.amdhsa_user_sgpr_dispatch_ptr 0
		.amdhsa_user_sgpr_queue_ptr 0
		.amdhsa_user_sgpr_kernarg_segment_ptr 1
		.amdhsa_user_sgpr_dispatch_id 0
		.amdhsa_user_sgpr_kernarg_preload_length 0
		.amdhsa_user_sgpr_kernarg_preload_offset 0
		.amdhsa_user_sgpr_private_segment_size 0
		.amdhsa_wavefront_size32 1
		.amdhsa_uses_dynamic_stack 0
		.amdhsa_enable_private_segment 0
		.amdhsa_system_sgpr_workgroup_id_x 1
		.amdhsa_system_sgpr_workgroup_id_y 0
		.amdhsa_system_sgpr_workgroup_id_z 0
		.amdhsa_system_sgpr_workgroup_info 0
		.amdhsa_system_vgpr_workitem_id 0
		.amdhsa_next_free_vgpr 1
		.amdhsa_next_free_sgpr 1
		.amdhsa_named_barrier_count 0
		.amdhsa_reserve_vcc 0
		.amdhsa_float_round_mode_32 0
		.amdhsa_float_round_mode_16_64 0
		.amdhsa_float_denorm_mode_32 3
		.amdhsa_float_denorm_mode_16_64 3
		.amdhsa_fp16_overflow 0
		.amdhsa_memory_ordered 1
		.amdhsa_forward_progress 1
		.amdhsa_inst_pref_size 0
		.amdhsa_round_robin_scheduling 0
		.amdhsa_exception_fp_ieee_invalid_op 0
		.amdhsa_exception_fp_denorm_src 0
		.amdhsa_exception_fp_ieee_div_zero 0
		.amdhsa_exception_fp_ieee_overflow 0
		.amdhsa_exception_fp_ieee_underflow 0
		.amdhsa_exception_fp_ieee_inexact 0
		.amdhsa_exception_int_div_zero 0
	.end_amdhsa_kernel
	.section	.text._ZN7rocprim17ROCPRIM_400000_NS6detail17trampoline_kernelINS0_14default_configENS1_22reduce_config_selectorIfEEZNS1_11reduce_implILb1ES3_PfS7_fN6thrust23THRUST_200600_302600_NS4plusIfEEEE10hipError_tPvRmT1_T2_T3_mT4_P12ihipStream_tbEUlT_E1_NS1_11comp_targetILNS1_3genE9ELNS1_11target_archE1100ELNS1_3gpuE3ELNS1_3repE0EEENS1_30default_config_static_selectorELNS0_4arch9wavefront6targetE0EEEvSF_,"axG",@progbits,_ZN7rocprim17ROCPRIM_400000_NS6detail17trampoline_kernelINS0_14default_configENS1_22reduce_config_selectorIfEEZNS1_11reduce_implILb1ES3_PfS7_fN6thrust23THRUST_200600_302600_NS4plusIfEEEE10hipError_tPvRmT1_T2_T3_mT4_P12ihipStream_tbEUlT_E1_NS1_11comp_targetILNS1_3genE9ELNS1_11target_archE1100ELNS1_3gpuE3ELNS1_3repE0EEENS1_30default_config_static_selectorELNS0_4arch9wavefront6targetE0EEEvSF_,comdat
.Lfunc_end16:
	.size	_ZN7rocprim17ROCPRIM_400000_NS6detail17trampoline_kernelINS0_14default_configENS1_22reduce_config_selectorIfEEZNS1_11reduce_implILb1ES3_PfS7_fN6thrust23THRUST_200600_302600_NS4plusIfEEEE10hipError_tPvRmT1_T2_T3_mT4_P12ihipStream_tbEUlT_E1_NS1_11comp_targetILNS1_3genE9ELNS1_11target_archE1100ELNS1_3gpuE3ELNS1_3repE0EEENS1_30default_config_static_selectorELNS0_4arch9wavefront6targetE0EEEvSF_, .Lfunc_end16-_ZN7rocprim17ROCPRIM_400000_NS6detail17trampoline_kernelINS0_14default_configENS1_22reduce_config_selectorIfEEZNS1_11reduce_implILb1ES3_PfS7_fN6thrust23THRUST_200600_302600_NS4plusIfEEEE10hipError_tPvRmT1_T2_T3_mT4_P12ihipStream_tbEUlT_E1_NS1_11comp_targetILNS1_3genE9ELNS1_11target_archE1100ELNS1_3gpuE3ELNS1_3repE0EEENS1_30default_config_static_selectorELNS0_4arch9wavefront6targetE0EEEvSF_
                                        ; -- End function
	.set _ZN7rocprim17ROCPRIM_400000_NS6detail17trampoline_kernelINS0_14default_configENS1_22reduce_config_selectorIfEEZNS1_11reduce_implILb1ES3_PfS7_fN6thrust23THRUST_200600_302600_NS4plusIfEEEE10hipError_tPvRmT1_T2_T3_mT4_P12ihipStream_tbEUlT_E1_NS1_11comp_targetILNS1_3genE9ELNS1_11target_archE1100ELNS1_3gpuE3ELNS1_3repE0EEENS1_30default_config_static_selectorELNS0_4arch9wavefront6targetE0EEEvSF_.num_vgpr, 0
	.set _ZN7rocprim17ROCPRIM_400000_NS6detail17trampoline_kernelINS0_14default_configENS1_22reduce_config_selectorIfEEZNS1_11reduce_implILb1ES3_PfS7_fN6thrust23THRUST_200600_302600_NS4plusIfEEEE10hipError_tPvRmT1_T2_T3_mT4_P12ihipStream_tbEUlT_E1_NS1_11comp_targetILNS1_3genE9ELNS1_11target_archE1100ELNS1_3gpuE3ELNS1_3repE0EEENS1_30default_config_static_selectorELNS0_4arch9wavefront6targetE0EEEvSF_.num_agpr, 0
	.set _ZN7rocprim17ROCPRIM_400000_NS6detail17trampoline_kernelINS0_14default_configENS1_22reduce_config_selectorIfEEZNS1_11reduce_implILb1ES3_PfS7_fN6thrust23THRUST_200600_302600_NS4plusIfEEEE10hipError_tPvRmT1_T2_T3_mT4_P12ihipStream_tbEUlT_E1_NS1_11comp_targetILNS1_3genE9ELNS1_11target_archE1100ELNS1_3gpuE3ELNS1_3repE0EEENS1_30default_config_static_selectorELNS0_4arch9wavefront6targetE0EEEvSF_.numbered_sgpr, 0
	.set _ZN7rocprim17ROCPRIM_400000_NS6detail17trampoline_kernelINS0_14default_configENS1_22reduce_config_selectorIfEEZNS1_11reduce_implILb1ES3_PfS7_fN6thrust23THRUST_200600_302600_NS4plusIfEEEE10hipError_tPvRmT1_T2_T3_mT4_P12ihipStream_tbEUlT_E1_NS1_11comp_targetILNS1_3genE9ELNS1_11target_archE1100ELNS1_3gpuE3ELNS1_3repE0EEENS1_30default_config_static_selectorELNS0_4arch9wavefront6targetE0EEEvSF_.num_named_barrier, 0
	.set _ZN7rocprim17ROCPRIM_400000_NS6detail17trampoline_kernelINS0_14default_configENS1_22reduce_config_selectorIfEEZNS1_11reduce_implILb1ES3_PfS7_fN6thrust23THRUST_200600_302600_NS4plusIfEEEE10hipError_tPvRmT1_T2_T3_mT4_P12ihipStream_tbEUlT_E1_NS1_11comp_targetILNS1_3genE9ELNS1_11target_archE1100ELNS1_3gpuE3ELNS1_3repE0EEENS1_30default_config_static_selectorELNS0_4arch9wavefront6targetE0EEEvSF_.private_seg_size, 0
	.set _ZN7rocprim17ROCPRIM_400000_NS6detail17trampoline_kernelINS0_14default_configENS1_22reduce_config_selectorIfEEZNS1_11reduce_implILb1ES3_PfS7_fN6thrust23THRUST_200600_302600_NS4plusIfEEEE10hipError_tPvRmT1_T2_T3_mT4_P12ihipStream_tbEUlT_E1_NS1_11comp_targetILNS1_3genE9ELNS1_11target_archE1100ELNS1_3gpuE3ELNS1_3repE0EEENS1_30default_config_static_selectorELNS0_4arch9wavefront6targetE0EEEvSF_.uses_vcc, 0
	.set _ZN7rocprim17ROCPRIM_400000_NS6detail17trampoline_kernelINS0_14default_configENS1_22reduce_config_selectorIfEEZNS1_11reduce_implILb1ES3_PfS7_fN6thrust23THRUST_200600_302600_NS4plusIfEEEE10hipError_tPvRmT1_T2_T3_mT4_P12ihipStream_tbEUlT_E1_NS1_11comp_targetILNS1_3genE9ELNS1_11target_archE1100ELNS1_3gpuE3ELNS1_3repE0EEENS1_30default_config_static_selectorELNS0_4arch9wavefront6targetE0EEEvSF_.uses_flat_scratch, 0
	.set _ZN7rocprim17ROCPRIM_400000_NS6detail17trampoline_kernelINS0_14default_configENS1_22reduce_config_selectorIfEEZNS1_11reduce_implILb1ES3_PfS7_fN6thrust23THRUST_200600_302600_NS4plusIfEEEE10hipError_tPvRmT1_T2_T3_mT4_P12ihipStream_tbEUlT_E1_NS1_11comp_targetILNS1_3genE9ELNS1_11target_archE1100ELNS1_3gpuE3ELNS1_3repE0EEENS1_30default_config_static_selectorELNS0_4arch9wavefront6targetE0EEEvSF_.has_dyn_sized_stack, 0
	.set _ZN7rocprim17ROCPRIM_400000_NS6detail17trampoline_kernelINS0_14default_configENS1_22reduce_config_selectorIfEEZNS1_11reduce_implILb1ES3_PfS7_fN6thrust23THRUST_200600_302600_NS4plusIfEEEE10hipError_tPvRmT1_T2_T3_mT4_P12ihipStream_tbEUlT_E1_NS1_11comp_targetILNS1_3genE9ELNS1_11target_archE1100ELNS1_3gpuE3ELNS1_3repE0EEENS1_30default_config_static_selectorELNS0_4arch9wavefront6targetE0EEEvSF_.has_recursion, 0
	.set _ZN7rocprim17ROCPRIM_400000_NS6detail17trampoline_kernelINS0_14default_configENS1_22reduce_config_selectorIfEEZNS1_11reduce_implILb1ES3_PfS7_fN6thrust23THRUST_200600_302600_NS4plusIfEEEE10hipError_tPvRmT1_T2_T3_mT4_P12ihipStream_tbEUlT_E1_NS1_11comp_targetILNS1_3genE9ELNS1_11target_archE1100ELNS1_3gpuE3ELNS1_3repE0EEENS1_30default_config_static_selectorELNS0_4arch9wavefront6targetE0EEEvSF_.has_indirect_call, 0
	.section	.AMDGPU.csdata,"",@progbits
; Kernel info:
; codeLenInByte = 0
; TotalNumSgprs: 0
; NumVgprs: 0
; ScratchSize: 0
; MemoryBound: 0
; FloatMode: 240
; IeeeMode: 1
; LDSByteSize: 0 bytes/workgroup (compile time only)
; SGPRBlocks: 0
; VGPRBlocks: 0
; NumSGPRsForWavesPerEU: 1
; NumVGPRsForWavesPerEU: 1
; NamedBarCnt: 0
; Occupancy: 16
; WaveLimiterHint : 0
; COMPUTE_PGM_RSRC2:SCRATCH_EN: 0
; COMPUTE_PGM_RSRC2:USER_SGPR: 2
; COMPUTE_PGM_RSRC2:TRAP_HANDLER: 0
; COMPUTE_PGM_RSRC2:TGID_X_EN: 1
; COMPUTE_PGM_RSRC2:TGID_Y_EN: 0
; COMPUTE_PGM_RSRC2:TGID_Z_EN: 0
; COMPUTE_PGM_RSRC2:TIDIG_COMP_CNT: 0
	.section	.text._ZN7rocprim17ROCPRIM_400000_NS6detail17trampoline_kernelINS0_14default_configENS1_22reduce_config_selectorIfEEZNS1_11reduce_implILb1ES3_PfS7_fN6thrust23THRUST_200600_302600_NS4plusIfEEEE10hipError_tPvRmT1_T2_T3_mT4_P12ihipStream_tbEUlT_E1_NS1_11comp_targetILNS1_3genE8ELNS1_11target_archE1030ELNS1_3gpuE2ELNS1_3repE0EEENS1_30default_config_static_selectorELNS0_4arch9wavefront6targetE0EEEvSF_,"axG",@progbits,_ZN7rocprim17ROCPRIM_400000_NS6detail17trampoline_kernelINS0_14default_configENS1_22reduce_config_selectorIfEEZNS1_11reduce_implILb1ES3_PfS7_fN6thrust23THRUST_200600_302600_NS4plusIfEEEE10hipError_tPvRmT1_T2_T3_mT4_P12ihipStream_tbEUlT_E1_NS1_11comp_targetILNS1_3genE8ELNS1_11target_archE1030ELNS1_3gpuE2ELNS1_3repE0EEENS1_30default_config_static_selectorELNS0_4arch9wavefront6targetE0EEEvSF_,comdat
	.protected	_ZN7rocprim17ROCPRIM_400000_NS6detail17trampoline_kernelINS0_14default_configENS1_22reduce_config_selectorIfEEZNS1_11reduce_implILb1ES3_PfS7_fN6thrust23THRUST_200600_302600_NS4plusIfEEEE10hipError_tPvRmT1_T2_T3_mT4_P12ihipStream_tbEUlT_E1_NS1_11comp_targetILNS1_3genE8ELNS1_11target_archE1030ELNS1_3gpuE2ELNS1_3repE0EEENS1_30default_config_static_selectorELNS0_4arch9wavefront6targetE0EEEvSF_ ; -- Begin function _ZN7rocprim17ROCPRIM_400000_NS6detail17trampoline_kernelINS0_14default_configENS1_22reduce_config_selectorIfEEZNS1_11reduce_implILb1ES3_PfS7_fN6thrust23THRUST_200600_302600_NS4plusIfEEEE10hipError_tPvRmT1_T2_T3_mT4_P12ihipStream_tbEUlT_E1_NS1_11comp_targetILNS1_3genE8ELNS1_11target_archE1030ELNS1_3gpuE2ELNS1_3repE0EEENS1_30default_config_static_selectorELNS0_4arch9wavefront6targetE0EEEvSF_
	.globl	_ZN7rocprim17ROCPRIM_400000_NS6detail17trampoline_kernelINS0_14default_configENS1_22reduce_config_selectorIfEEZNS1_11reduce_implILb1ES3_PfS7_fN6thrust23THRUST_200600_302600_NS4plusIfEEEE10hipError_tPvRmT1_T2_T3_mT4_P12ihipStream_tbEUlT_E1_NS1_11comp_targetILNS1_3genE8ELNS1_11target_archE1030ELNS1_3gpuE2ELNS1_3repE0EEENS1_30default_config_static_selectorELNS0_4arch9wavefront6targetE0EEEvSF_
	.p2align	8
	.type	_ZN7rocprim17ROCPRIM_400000_NS6detail17trampoline_kernelINS0_14default_configENS1_22reduce_config_selectorIfEEZNS1_11reduce_implILb1ES3_PfS7_fN6thrust23THRUST_200600_302600_NS4plusIfEEEE10hipError_tPvRmT1_T2_T3_mT4_P12ihipStream_tbEUlT_E1_NS1_11comp_targetILNS1_3genE8ELNS1_11target_archE1030ELNS1_3gpuE2ELNS1_3repE0EEENS1_30default_config_static_selectorELNS0_4arch9wavefront6targetE0EEEvSF_,@function
_ZN7rocprim17ROCPRIM_400000_NS6detail17trampoline_kernelINS0_14default_configENS1_22reduce_config_selectorIfEEZNS1_11reduce_implILb1ES3_PfS7_fN6thrust23THRUST_200600_302600_NS4plusIfEEEE10hipError_tPvRmT1_T2_T3_mT4_P12ihipStream_tbEUlT_E1_NS1_11comp_targetILNS1_3genE8ELNS1_11target_archE1030ELNS1_3gpuE2ELNS1_3repE0EEENS1_30default_config_static_selectorELNS0_4arch9wavefront6targetE0EEEvSF_: ; @_ZN7rocprim17ROCPRIM_400000_NS6detail17trampoline_kernelINS0_14default_configENS1_22reduce_config_selectorIfEEZNS1_11reduce_implILb1ES3_PfS7_fN6thrust23THRUST_200600_302600_NS4plusIfEEEE10hipError_tPvRmT1_T2_T3_mT4_P12ihipStream_tbEUlT_E1_NS1_11comp_targetILNS1_3genE8ELNS1_11target_archE1030ELNS1_3gpuE2ELNS1_3repE0EEENS1_30default_config_static_selectorELNS0_4arch9wavefront6targetE0EEEvSF_
; %bb.0:
	.section	.rodata,"a",@progbits
	.p2align	6, 0x0
	.amdhsa_kernel _ZN7rocprim17ROCPRIM_400000_NS6detail17trampoline_kernelINS0_14default_configENS1_22reduce_config_selectorIfEEZNS1_11reduce_implILb1ES3_PfS7_fN6thrust23THRUST_200600_302600_NS4plusIfEEEE10hipError_tPvRmT1_T2_T3_mT4_P12ihipStream_tbEUlT_E1_NS1_11comp_targetILNS1_3genE8ELNS1_11target_archE1030ELNS1_3gpuE2ELNS1_3repE0EEENS1_30default_config_static_selectorELNS0_4arch9wavefront6targetE0EEEvSF_
		.amdhsa_group_segment_fixed_size 0
		.amdhsa_private_segment_fixed_size 0
		.amdhsa_kernarg_size 40
		.amdhsa_user_sgpr_count 2
		.amdhsa_user_sgpr_dispatch_ptr 0
		.amdhsa_user_sgpr_queue_ptr 0
		.amdhsa_user_sgpr_kernarg_segment_ptr 1
		.amdhsa_user_sgpr_dispatch_id 0
		.amdhsa_user_sgpr_kernarg_preload_length 0
		.amdhsa_user_sgpr_kernarg_preload_offset 0
		.amdhsa_user_sgpr_private_segment_size 0
		.amdhsa_wavefront_size32 1
		.amdhsa_uses_dynamic_stack 0
		.amdhsa_enable_private_segment 0
		.amdhsa_system_sgpr_workgroup_id_x 1
		.amdhsa_system_sgpr_workgroup_id_y 0
		.amdhsa_system_sgpr_workgroup_id_z 0
		.amdhsa_system_sgpr_workgroup_info 0
		.amdhsa_system_vgpr_workitem_id 0
		.amdhsa_next_free_vgpr 1
		.amdhsa_next_free_sgpr 1
		.amdhsa_named_barrier_count 0
		.amdhsa_reserve_vcc 0
		.amdhsa_float_round_mode_32 0
		.amdhsa_float_round_mode_16_64 0
		.amdhsa_float_denorm_mode_32 3
		.amdhsa_float_denorm_mode_16_64 3
		.amdhsa_fp16_overflow 0
		.amdhsa_memory_ordered 1
		.amdhsa_forward_progress 1
		.amdhsa_inst_pref_size 0
		.amdhsa_round_robin_scheduling 0
		.amdhsa_exception_fp_ieee_invalid_op 0
		.amdhsa_exception_fp_denorm_src 0
		.amdhsa_exception_fp_ieee_div_zero 0
		.amdhsa_exception_fp_ieee_overflow 0
		.amdhsa_exception_fp_ieee_underflow 0
		.amdhsa_exception_fp_ieee_inexact 0
		.amdhsa_exception_int_div_zero 0
	.end_amdhsa_kernel
	.section	.text._ZN7rocprim17ROCPRIM_400000_NS6detail17trampoline_kernelINS0_14default_configENS1_22reduce_config_selectorIfEEZNS1_11reduce_implILb1ES3_PfS7_fN6thrust23THRUST_200600_302600_NS4plusIfEEEE10hipError_tPvRmT1_T2_T3_mT4_P12ihipStream_tbEUlT_E1_NS1_11comp_targetILNS1_3genE8ELNS1_11target_archE1030ELNS1_3gpuE2ELNS1_3repE0EEENS1_30default_config_static_selectorELNS0_4arch9wavefront6targetE0EEEvSF_,"axG",@progbits,_ZN7rocprim17ROCPRIM_400000_NS6detail17trampoline_kernelINS0_14default_configENS1_22reduce_config_selectorIfEEZNS1_11reduce_implILb1ES3_PfS7_fN6thrust23THRUST_200600_302600_NS4plusIfEEEE10hipError_tPvRmT1_T2_T3_mT4_P12ihipStream_tbEUlT_E1_NS1_11comp_targetILNS1_3genE8ELNS1_11target_archE1030ELNS1_3gpuE2ELNS1_3repE0EEENS1_30default_config_static_selectorELNS0_4arch9wavefront6targetE0EEEvSF_,comdat
.Lfunc_end17:
	.size	_ZN7rocprim17ROCPRIM_400000_NS6detail17trampoline_kernelINS0_14default_configENS1_22reduce_config_selectorIfEEZNS1_11reduce_implILb1ES3_PfS7_fN6thrust23THRUST_200600_302600_NS4plusIfEEEE10hipError_tPvRmT1_T2_T3_mT4_P12ihipStream_tbEUlT_E1_NS1_11comp_targetILNS1_3genE8ELNS1_11target_archE1030ELNS1_3gpuE2ELNS1_3repE0EEENS1_30default_config_static_selectorELNS0_4arch9wavefront6targetE0EEEvSF_, .Lfunc_end17-_ZN7rocprim17ROCPRIM_400000_NS6detail17trampoline_kernelINS0_14default_configENS1_22reduce_config_selectorIfEEZNS1_11reduce_implILb1ES3_PfS7_fN6thrust23THRUST_200600_302600_NS4plusIfEEEE10hipError_tPvRmT1_T2_T3_mT4_P12ihipStream_tbEUlT_E1_NS1_11comp_targetILNS1_3genE8ELNS1_11target_archE1030ELNS1_3gpuE2ELNS1_3repE0EEENS1_30default_config_static_selectorELNS0_4arch9wavefront6targetE0EEEvSF_
                                        ; -- End function
	.set _ZN7rocprim17ROCPRIM_400000_NS6detail17trampoline_kernelINS0_14default_configENS1_22reduce_config_selectorIfEEZNS1_11reduce_implILb1ES3_PfS7_fN6thrust23THRUST_200600_302600_NS4plusIfEEEE10hipError_tPvRmT1_T2_T3_mT4_P12ihipStream_tbEUlT_E1_NS1_11comp_targetILNS1_3genE8ELNS1_11target_archE1030ELNS1_3gpuE2ELNS1_3repE0EEENS1_30default_config_static_selectorELNS0_4arch9wavefront6targetE0EEEvSF_.num_vgpr, 0
	.set _ZN7rocprim17ROCPRIM_400000_NS6detail17trampoline_kernelINS0_14default_configENS1_22reduce_config_selectorIfEEZNS1_11reduce_implILb1ES3_PfS7_fN6thrust23THRUST_200600_302600_NS4plusIfEEEE10hipError_tPvRmT1_T2_T3_mT4_P12ihipStream_tbEUlT_E1_NS1_11comp_targetILNS1_3genE8ELNS1_11target_archE1030ELNS1_3gpuE2ELNS1_3repE0EEENS1_30default_config_static_selectorELNS0_4arch9wavefront6targetE0EEEvSF_.num_agpr, 0
	.set _ZN7rocprim17ROCPRIM_400000_NS6detail17trampoline_kernelINS0_14default_configENS1_22reduce_config_selectorIfEEZNS1_11reduce_implILb1ES3_PfS7_fN6thrust23THRUST_200600_302600_NS4plusIfEEEE10hipError_tPvRmT1_T2_T3_mT4_P12ihipStream_tbEUlT_E1_NS1_11comp_targetILNS1_3genE8ELNS1_11target_archE1030ELNS1_3gpuE2ELNS1_3repE0EEENS1_30default_config_static_selectorELNS0_4arch9wavefront6targetE0EEEvSF_.numbered_sgpr, 0
	.set _ZN7rocprim17ROCPRIM_400000_NS6detail17trampoline_kernelINS0_14default_configENS1_22reduce_config_selectorIfEEZNS1_11reduce_implILb1ES3_PfS7_fN6thrust23THRUST_200600_302600_NS4plusIfEEEE10hipError_tPvRmT1_T2_T3_mT4_P12ihipStream_tbEUlT_E1_NS1_11comp_targetILNS1_3genE8ELNS1_11target_archE1030ELNS1_3gpuE2ELNS1_3repE0EEENS1_30default_config_static_selectorELNS0_4arch9wavefront6targetE0EEEvSF_.num_named_barrier, 0
	.set _ZN7rocprim17ROCPRIM_400000_NS6detail17trampoline_kernelINS0_14default_configENS1_22reduce_config_selectorIfEEZNS1_11reduce_implILb1ES3_PfS7_fN6thrust23THRUST_200600_302600_NS4plusIfEEEE10hipError_tPvRmT1_T2_T3_mT4_P12ihipStream_tbEUlT_E1_NS1_11comp_targetILNS1_3genE8ELNS1_11target_archE1030ELNS1_3gpuE2ELNS1_3repE0EEENS1_30default_config_static_selectorELNS0_4arch9wavefront6targetE0EEEvSF_.private_seg_size, 0
	.set _ZN7rocprim17ROCPRIM_400000_NS6detail17trampoline_kernelINS0_14default_configENS1_22reduce_config_selectorIfEEZNS1_11reduce_implILb1ES3_PfS7_fN6thrust23THRUST_200600_302600_NS4plusIfEEEE10hipError_tPvRmT1_T2_T3_mT4_P12ihipStream_tbEUlT_E1_NS1_11comp_targetILNS1_3genE8ELNS1_11target_archE1030ELNS1_3gpuE2ELNS1_3repE0EEENS1_30default_config_static_selectorELNS0_4arch9wavefront6targetE0EEEvSF_.uses_vcc, 0
	.set _ZN7rocprim17ROCPRIM_400000_NS6detail17trampoline_kernelINS0_14default_configENS1_22reduce_config_selectorIfEEZNS1_11reduce_implILb1ES3_PfS7_fN6thrust23THRUST_200600_302600_NS4plusIfEEEE10hipError_tPvRmT1_T2_T3_mT4_P12ihipStream_tbEUlT_E1_NS1_11comp_targetILNS1_3genE8ELNS1_11target_archE1030ELNS1_3gpuE2ELNS1_3repE0EEENS1_30default_config_static_selectorELNS0_4arch9wavefront6targetE0EEEvSF_.uses_flat_scratch, 0
	.set _ZN7rocprim17ROCPRIM_400000_NS6detail17trampoline_kernelINS0_14default_configENS1_22reduce_config_selectorIfEEZNS1_11reduce_implILb1ES3_PfS7_fN6thrust23THRUST_200600_302600_NS4plusIfEEEE10hipError_tPvRmT1_T2_T3_mT4_P12ihipStream_tbEUlT_E1_NS1_11comp_targetILNS1_3genE8ELNS1_11target_archE1030ELNS1_3gpuE2ELNS1_3repE0EEENS1_30default_config_static_selectorELNS0_4arch9wavefront6targetE0EEEvSF_.has_dyn_sized_stack, 0
	.set _ZN7rocprim17ROCPRIM_400000_NS6detail17trampoline_kernelINS0_14default_configENS1_22reduce_config_selectorIfEEZNS1_11reduce_implILb1ES3_PfS7_fN6thrust23THRUST_200600_302600_NS4plusIfEEEE10hipError_tPvRmT1_T2_T3_mT4_P12ihipStream_tbEUlT_E1_NS1_11comp_targetILNS1_3genE8ELNS1_11target_archE1030ELNS1_3gpuE2ELNS1_3repE0EEENS1_30default_config_static_selectorELNS0_4arch9wavefront6targetE0EEEvSF_.has_recursion, 0
	.set _ZN7rocprim17ROCPRIM_400000_NS6detail17trampoline_kernelINS0_14default_configENS1_22reduce_config_selectorIfEEZNS1_11reduce_implILb1ES3_PfS7_fN6thrust23THRUST_200600_302600_NS4plusIfEEEE10hipError_tPvRmT1_T2_T3_mT4_P12ihipStream_tbEUlT_E1_NS1_11comp_targetILNS1_3genE8ELNS1_11target_archE1030ELNS1_3gpuE2ELNS1_3repE0EEENS1_30default_config_static_selectorELNS0_4arch9wavefront6targetE0EEEvSF_.has_indirect_call, 0
	.section	.AMDGPU.csdata,"",@progbits
; Kernel info:
; codeLenInByte = 0
; TotalNumSgprs: 0
; NumVgprs: 0
; ScratchSize: 0
; MemoryBound: 0
; FloatMode: 240
; IeeeMode: 1
; LDSByteSize: 0 bytes/workgroup (compile time only)
; SGPRBlocks: 0
; VGPRBlocks: 0
; NumSGPRsForWavesPerEU: 1
; NumVGPRsForWavesPerEU: 1
; NamedBarCnt: 0
; Occupancy: 16
; WaveLimiterHint : 0
; COMPUTE_PGM_RSRC2:SCRATCH_EN: 0
; COMPUTE_PGM_RSRC2:USER_SGPR: 2
; COMPUTE_PGM_RSRC2:TRAP_HANDLER: 0
; COMPUTE_PGM_RSRC2:TGID_X_EN: 1
; COMPUTE_PGM_RSRC2:TGID_Y_EN: 0
; COMPUTE_PGM_RSRC2:TGID_Z_EN: 0
; COMPUTE_PGM_RSRC2:TIDIG_COMP_CNT: 0
	.section	.text._ZN7rocprim17ROCPRIM_400000_NS6detail17trampoline_kernelINS0_14default_configENS1_22reduce_config_selectorIfEEZNS1_11reduce_implILb1ES3_N6thrust23THRUST_200600_302600_NS11hip_rocprim26transform_input_iterator_tIfNS8_17counting_iteratorIiNS8_11use_defaultESC_SC_EE11estimate_piEEPffNS8_4plusIfEEEE10hipError_tPvRmT1_T2_T3_mT4_P12ihipStream_tbEUlT_E0_NS1_11comp_targetILNS1_3genE0ELNS1_11target_archE4294967295ELNS1_3gpuE0ELNS1_3repE0EEENS1_30default_config_static_selectorELNS0_4arch9wavefront6targetE0EEEvSM_,"axG",@progbits,_ZN7rocprim17ROCPRIM_400000_NS6detail17trampoline_kernelINS0_14default_configENS1_22reduce_config_selectorIfEEZNS1_11reduce_implILb1ES3_N6thrust23THRUST_200600_302600_NS11hip_rocprim26transform_input_iterator_tIfNS8_17counting_iteratorIiNS8_11use_defaultESC_SC_EE11estimate_piEEPffNS8_4plusIfEEEE10hipError_tPvRmT1_T2_T3_mT4_P12ihipStream_tbEUlT_E0_NS1_11comp_targetILNS1_3genE0ELNS1_11target_archE4294967295ELNS1_3gpuE0ELNS1_3repE0EEENS1_30default_config_static_selectorELNS0_4arch9wavefront6targetE0EEEvSM_,comdat
	.protected	_ZN7rocprim17ROCPRIM_400000_NS6detail17trampoline_kernelINS0_14default_configENS1_22reduce_config_selectorIfEEZNS1_11reduce_implILb1ES3_N6thrust23THRUST_200600_302600_NS11hip_rocprim26transform_input_iterator_tIfNS8_17counting_iteratorIiNS8_11use_defaultESC_SC_EE11estimate_piEEPffNS8_4plusIfEEEE10hipError_tPvRmT1_T2_T3_mT4_P12ihipStream_tbEUlT_E0_NS1_11comp_targetILNS1_3genE0ELNS1_11target_archE4294967295ELNS1_3gpuE0ELNS1_3repE0EEENS1_30default_config_static_selectorELNS0_4arch9wavefront6targetE0EEEvSM_ ; -- Begin function _ZN7rocprim17ROCPRIM_400000_NS6detail17trampoline_kernelINS0_14default_configENS1_22reduce_config_selectorIfEEZNS1_11reduce_implILb1ES3_N6thrust23THRUST_200600_302600_NS11hip_rocprim26transform_input_iterator_tIfNS8_17counting_iteratorIiNS8_11use_defaultESC_SC_EE11estimate_piEEPffNS8_4plusIfEEEE10hipError_tPvRmT1_T2_T3_mT4_P12ihipStream_tbEUlT_E0_NS1_11comp_targetILNS1_3genE0ELNS1_11target_archE4294967295ELNS1_3gpuE0ELNS1_3repE0EEENS1_30default_config_static_selectorELNS0_4arch9wavefront6targetE0EEEvSM_
	.globl	_ZN7rocprim17ROCPRIM_400000_NS6detail17trampoline_kernelINS0_14default_configENS1_22reduce_config_selectorIfEEZNS1_11reduce_implILb1ES3_N6thrust23THRUST_200600_302600_NS11hip_rocprim26transform_input_iterator_tIfNS8_17counting_iteratorIiNS8_11use_defaultESC_SC_EE11estimate_piEEPffNS8_4plusIfEEEE10hipError_tPvRmT1_T2_T3_mT4_P12ihipStream_tbEUlT_E0_NS1_11comp_targetILNS1_3genE0ELNS1_11target_archE4294967295ELNS1_3gpuE0ELNS1_3repE0EEENS1_30default_config_static_selectorELNS0_4arch9wavefront6targetE0EEEvSM_
	.p2align	8
	.type	_ZN7rocprim17ROCPRIM_400000_NS6detail17trampoline_kernelINS0_14default_configENS1_22reduce_config_selectorIfEEZNS1_11reduce_implILb1ES3_N6thrust23THRUST_200600_302600_NS11hip_rocprim26transform_input_iterator_tIfNS8_17counting_iteratorIiNS8_11use_defaultESC_SC_EE11estimate_piEEPffNS8_4plusIfEEEE10hipError_tPvRmT1_T2_T3_mT4_P12ihipStream_tbEUlT_E0_NS1_11comp_targetILNS1_3genE0ELNS1_11target_archE4294967295ELNS1_3gpuE0ELNS1_3repE0EEENS1_30default_config_static_selectorELNS0_4arch9wavefront6targetE0EEEvSM_,@function
_ZN7rocprim17ROCPRIM_400000_NS6detail17trampoline_kernelINS0_14default_configENS1_22reduce_config_selectorIfEEZNS1_11reduce_implILb1ES3_N6thrust23THRUST_200600_302600_NS11hip_rocprim26transform_input_iterator_tIfNS8_17counting_iteratorIiNS8_11use_defaultESC_SC_EE11estimate_piEEPffNS8_4plusIfEEEE10hipError_tPvRmT1_T2_T3_mT4_P12ihipStream_tbEUlT_E0_NS1_11comp_targetILNS1_3genE0ELNS1_11target_archE4294967295ELNS1_3gpuE0ELNS1_3repE0EEENS1_30default_config_static_selectorELNS0_4arch9wavefront6targetE0EEEvSM_: ; @_ZN7rocprim17ROCPRIM_400000_NS6detail17trampoline_kernelINS0_14default_configENS1_22reduce_config_selectorIfEEZNS1_11reduce_implILb1ES3_N6thrust23THRUST_200600_302600_NS11hip_rocprim26transform_input_iterator_tIfNS8_17counting_iteratorIiNS8_11use_defaultESC_SC_EE11estimate_piEEPffNS8_4plusIfEEEE10hipError_tPvRmT1_T2_T3_mT4_P12ihipStream_tbEUlT_E0_NS1_11comp_targetILNS1_3genE0ELNS1_11target_archE4294967295ELNS1_3gpuE0ELNS1_3repE0EEENS1_30default_config_static_selectorELNS0_4arch9wavefront6targetE0EEEvSM_
; %bb.0:
	s_clause 0x2
	s_load_b32 s2, s[0:1], 0x0
	s_load_b256 s[8:15], s[0:1], 0x8
	s_load_b64 s[16:17], s[0:1], 0x28
	s_bfe_u32 s3, ttmp6, 0x4000c
	s_and_b32 s4, ttmp6, 15
	s_add_co_i32 s3, s3, 1
	s_getreg_b32 s5, hwreg(HW_REG_IB_STS2, 6, 4)
	s_mul_i32 s3, ttmp9, s3
	s_mov_b32 s19, 0
	s_add_co_i32 s4, s4, s3
	s_cmp_eq_u32 s5, 0
	s_cselect_b32 s18, ttmp9, s4
	s_delay_alu instid0(SALU_CYCLE_1)
	s_lshl_b32 s5, s18, 10
	s_wait_kmcnt 0x0
	s_add_co_i32 s7, s2, s5
	s_lshr_b64 s[2:3], s[10:11], 10
	s_add_co_i32 s7, s7, s8
	s_cmp_lg_u64 s[2:3], s[18:19]
	s_cbranch_scc0 .LBB18_14
; %bb.1:
	v_add_nc_u32_e32 v2, s7, v0
	s_movk_i32 s6, 0x2710
	s_brev_b32 s4, 12
	s_delay_alu instid0(VALU_DEP_1) | instskip(NEXT) | instid1(VALU_DEP_1)
	v_lshlrev_b32_e32 v1, 12, v2
	v_add3_u32 v1, v2, v1, 0x7ed55d16
	s_delay_alu instid0(VALU_DEP_1) | instskip(NEXT) | instid1(VALU_DEP_1)
	v_lshrrev_b32_e32 v3, 19, v1
	v_xor3_b32 v1, v1, v3, 0xc761c23c
	s_delay_alu instid0(VALU_DEP_1) | instskip(NEXT) | instid1(VALU_DEP_1)
	v_lshl_add_u32 v1, v1, 5, v1
	v_add_nc_u32_e32 v3, 0xe9f8cc1d, v1
	v_lshl_add_u32 v1, v1, 9, 0xaccf6200
	s_delay_alu instid0(VALU_DEP_1) | instskip(NEXT) | instid1(VALU_DEP_1)
	v_xor_b32_e32 v1, v3, v1
	v_lshlrev_b32_e32 v3, 3, v1
	s_delay_alu instid0(VALU_DEP_1) | instskip(NEXT) | instid1(VALU_DEP_1)
	v_add3_u32 v1, v1, v3, 0xfd7046c5
	v_lshrrev_b32_e32 v3, 16, v1
	s_delay_alu instid0(VALU_DEP_1) | instskip(NEXT) | instid1(VALU_DEP_1)
	v_xor3_b32 v1, v1, v3, 0xb55a4f09
	v_mul_hi_u32 v3, v1, 3
	s_delay_alu instid0(VALU_DEP_1) | instskip(NEXT) | instid1(VALU_DEP_1)
	v_sub_nc_u32_e32 v4, v1, v3
	v_lshrrev_b32_e32 v4, 1, v4
	s_delay_alu instid0(VALU_DEP_1) | instskip(NEXT) | instid1(VALU_DEP_1)
	v_add_nc_u32_e32 v3, v4, v3
	v_lshrrev_b32_e32 v3, 30, v3
	s_delay_alu instid0(VALU_DEP_1) | instskip(NEXT) | instid1(VALU_DEP_1)
	v_mul_lo_u32 v3, 0x7fffffff, v3
	v_sub_nc_u32_e32 v1, v1, v3
	s_delay_alu instid0(VALU_DEP_1)
	v_max_u32_e32 v3, 1, v1
	v_mov_b32_e32 v1, 0
.LBB18_2:                               ; =>This Inner Loop Header: Depth=1
	s_delay_alu instid0(VALU_DEP_2) | instskip(SKIP_1) | instid1(SALU_CYCLE_1)
	v_mul_hi_u32 v4, 0xbc8f1391, v3
	s_add_co_i32 s6, s6, -2
	s_cmp_lg_u32 s6, 0
	s_delay_alu instid0(VALU_DEP_1) | instskip(NEXT) | instid1(VALU_DEP_1)
	v_lshrrev_b32_e32 v4, 15, v4
	v_mul_u32_u24_e32 v5, 0xadc8, v4
	s_delay_alu instid0(VALU_DEP_1) | instskip(SKIP_1) | instid1(VALU_DEP_2)
	v_sub_nc_u32_e32 v3, v3, v5
	v_mul_u32_u24_e32 v4, 0xd47, v4
	v_mul_lo_u32 v3, 0xbc8f, v3
	s_delay_alu instid0(VALU_DEP_2) | instskip(SKIP_1) | instid1(VALU_DEP_3)
	v_xor_b32_e32 v5, 0x7fffffff, v4
	v_sub_nc_u32_e32 v6, 0, v4
	v_cmp_lt_u32_e32 vcc_lo, v3, v4
	s_delay_alu instid0(VALU_DEP_2) | instskip(NEXT) | instid1(VALU_DEP_1)
	v_cndmask_b32_e32 v4, v6, v5, vcc_lo
	v_add_nc_u32_e32 v3, v4, v3
	s_delay_alu instid0(VALU_DEP_1) | instskip(NEXT) | instid1(VALU_DEP_1)
	v_mul_hi_u32 v4, 0xbc8f1391, v3
	v_lshrrev_b32_e32 v4, 15, v4
	s_delay_alu instid0(VALU_DEP_1) | instskip(SKIP_1) | instid1(VALU_DEP_2)
	v_mul_u32_u24_e32 v5, 0xadc8, v4
	v_mul_u32_u24_e32 v4, 0xd47, v4
	v_sub_nc_u32_e32 v5, v3, v5
	s_delay_alu instid0(VALU_DEP_2) | instskip(SKIP_1) | instid1(VALU_DEP_3)
	v_xor_b32_e32 v6, 0x7fffffff, v4
	v_add_nc_u32_e32 v3, -1, v3
	v_mul_lo_u32 v5, 0xbc8f, v5
	v_sub_nc_u32_e32 v7, 0, v4
	s_delay_alu instid0(VALU_DEP_2) | instskip(NEXT) | instid1(VALU_DEP_2)
	v_cmp_lt_u32_e32 vcc_lo, v5, v4
	v_cndmask_b32_e32 v4, v7, v6, vcc_lo
	s_delay_alu instid0(VALU_DEP_1) | instskip(NEXT) | instid1(VALU_DEP_1)
	v_add_nc_u32_e32 v5, v4, v5
	v_mul_hi_u32 v4, 0xbc8f1391, v5
	s_delay_alu instid0(VALU_DEP_1) | instskip(NEXT) | instid1(VALU_DEP_1)
	v_lshrrev_b32_e32 v4, 15, v4
	v_mul_u32_u24_e32 v6, 0xadc8, v4
	v_mul_u32_u24_e32 v4, 0xd47, v4
	s_delay_alu instid0(VALU_DEP_2) | instskip(NEXT) | instid1(VALU_DEP_2)
	v_sub_nc_u32_e32 v6, v5, v6
	v_xor_b32_e32 v7, 0x7fffffff, v4
	s_delay_alu instid0(VALU_DEP_2) | instskip(SKIP_1) | instid1(VALU_DEP_2)
	v_mul_lo_u32 v6, 0xbc8f, v6
	v_sub_nc_u32_e32 v8, 0, v4
	v_cmp_lt_u32_e32 vcc_lo, v6, v4
	s_delay_alu instid0(VALU_DEP_2) | instskip(NEXT) | instid1(VALU_DEP_1)
	v_dual_cndmask_b32 v4, v8, v7, vcc_lo :: v_dual_add_f32 v8, 1.0, v1
	v_add_nc_u32_e32 v6, v4, v6
	s_delay_alu instid0(VALU_DEP_1) | instskip(NEXT) | instid1(VALU_DEP_1)
	v_mul_hi_u32 v4, 0xbc8f1391, v6
	v_lshrrev_b32_e32 v4, 15, v4
	s_delay_alu instid0(VALU_DEP_1) | instskip(SKIP_2) | instid1(VALU_DEP_3)
	v_mul_u32_u24_e32 v7, 0xadc8, v4
	v_mul_u32_u24_e32 v9, 0xd47, v4
	v_cvt_f32_u32_e32 v4, v3
	v_sub_nc_u32_e32 v7, v6, v7
	s_delay_alu instid0(VALU_DEP_3) | instskip(SKIP_1) | instid1(VALU_DEP_3)
	v_xor_b32_e32 v3, 0x7fffffff, v9
	v_dual_sub_nc_u32 v10, 0, v9 :: v_dual_add_nc_u32 v6, -1, v6
	v_mul_lo_u32 v7, 0xbc8f, v7
	s_delay_alu instid0(VALU_DEP_2) | instskip(NEXT) | instid1(VALU_DEP_2)
	v_cvt_f32_u32_e32 v6, v6
	v_cmp_lt_u32_e32 vcc_lo, v7, v9
	s_delay_alu instid0(VALU_DEP_4) | instskip(NEXT) | instid1(VALU_DEP_1)
	v_dual_add_nc_u32 v5, -1, v5 :: v_dual_cndmask_b32 v3, v10, v3, vcc_lo
	v_cvt_f32_u32_e32 v5, v5
	s_delay_alu instid0(VALU_DEP_2) | instskip(NEXT) | instid1(VALU_DEP_2)
	v_add_nc_u32_e32 v3, v3, v7
	v_pk_fma_f32 v[4:5], v[4:5], s[4:5], 0 op_sel_hi:[1,0,0]
	s_delay_alu instid0(VALU_DEP_1) | instskip(NEXT) | instid1(VALU_DEP_1)
	v_pk_mul_f32 v[4:5], v[4:5], v[4:5]
	v_dual_add_nc_u32 v7, -1, v3 :: v_dual_add_f32 v9, v4, v5
	s_delay_alu instid0(VALU_DEP_1) | instskip(NEXT) | instid1(VALU_DEP_2)
	v_cvt_f32_u32_e32 v7, v7
	v_cmp_gt_f32_e32 vcc_lo, 0xf800000, v9
	s_delay_alu instid0(VALU_DEP_2) | instskip(NEXT) | instid1(VALU_DEP_1)
	v_pk_fma_f32 v[4:5], v[6:7], s[4:5], 0 op_sel_hi:[1,0,0]
	v_pk_mul_f32 v[4:5], v[4:5], v[4:5]
	s_delay_alu instid0(VALU_DEP_1) | instskip(NEXT) | instid1(VALU_DEP_1)
	v_add_f32_e32 v4, v4, v5
	v_dual_mul_f32 v6, 0x4f800000, v9 :: v_dual_mul_f32 v7, 0x4f800000, v4
	s_delay_alu instid0(VALU_DEP_1) | instskip(SKIP_1) | instid1(VALU_DEP_2)
	v_cndmask_b32_e32 v6, v9, v6, vcc_lo
	v_cmp_gt_f32_e64 s2, 0xf800000, v4
	v_sqrt_f32_e32 v5, v6
	v_nop
	s_delay_alu instid0(TRANS32_DEP_1) | instskip(NEXT) | instid1(VALU_DEP_1)
	v_dual_add_nc_u32 v9, -1, v5 :: v_dual_cndmask_b32 v4, v4, v7, s2
	v_dual_add_nc_u32 v7, 1, v5 :: v_dual_fma_f32 v10, -v9, v5, v6
	s_delay_alu instid0(VALU_DEP_2) | instskip(NEXT) | instid1(VALU_DEP_1)
	v_sqrt_f32_e32 v11, v4
	v_fma_f32 v12, -v7, v5, v6
	s_delay_alu instid0(VALU_DEP_2)
	v_cmp_ge_f32_e64 s3, 0, v10
	s_delay_alu instid0(TRANS32_DEP_1) | instid1(VALU_DEP_1)
	v_dual_cndmask_b32 v5, v5, v9, s3 :: v_dual_add_nc_u32 v9, -1, v11
	s_delay_alu instid0(VALU_DEP_3) | instskip(NEXT) | instid1(VALU_DEP_1)
	v_cmp_lt_f32_e64 s3, 0, v12
	v_cndmask_b32_e64 v5, v5, v7, s3
	s_delay_alu instid0(VALU_DEP_3) | instskip(NEXT) | instid1(VALU_DEP_1)
	v_dual_add_nc_u32 v7, 1, v11 :: v_dual_fma_f32 v10, -v9, v11, v4
	v_fma_f32 v13, -v7, v11, v4
	s_delay_alu instid0(VALU_DEP_2) | instskip(NEXT) | instid1(VALU_DEP_1)
	v_cmp_ge_f32_e64 s3, 0, v10
	v_cndmask_b32_e64 v9, v11, v9, s3
	v_mul_f32_e32 v12, 0x37800000, v5
	s_delay_alu instid0(VALU_DEP_4) | instskip(NEXT) | instid1(VALU_DEP_1)
	v_cmp_lt_f32_e64 s3, 0, v13
	v_cndmask_b32_e64 v7, v9, v7, s3
	s_delay_alu instid0(VALU_DEP_3) | instskip(SKIP_1) | instid1(VALU_DEP_2)
	v_cndmask_b32_e32 v5, v5, v12, vcc_lo
	v_cmp_class_f32_e64 vcc_lo, v6, 0x260
	v_cndmask_b32_e32 v5, v5, v6, vcc_lo
	s_delay_alu instid0(VALU_DEP_1) | instskip(SKIP_2) | instid1(VALU_DEP_2)
	v_cmp_nge_f32_e32 vcc_lo, 1.0, v5
	v_dual_cndmask_b32 v1, v8, v1 :: v_dual_mul_f32 v6, 0x37800000, v7
	v_cmp_class_f32_e64 vcc_lo, v4, 0x260
	v_dual_cndmask_b32 v5, v7, v6, s2 :: v_dual_add_f32 v6, 1.0, v1
	s_delay_alu instid0(VALU_DEP_1) | instskip(NEXT) | instid1(VALU_DEP_1)
	v_cndmask_b32_e32 v4, v5, v4, vcc_lo
	v_cmp_nge_f32_e32 vcc_lo, 1.0, v4
	s_delay_alu instid0(VALU_DEP_3)
	v_cndmask_b32_e32 v1, v6, v1, vcc_lo
	s_cbranch_scc1 .LBB18_2
; %bb.3:
	v_lshl_add_u32 v3, v2, 12, v2
	s_movk_i32 s6, 0x2710
	s_brev_b32 s4, 12
	s_delay_alu instid0(VALU_DEP_1) | instskip(NEXT) | instid1(VALU_DEP_1)
	v_add_nc_u32_e32 v2, 0x7ee55e16, v3
	v_lshrrev_b32_e32 v4, 19, v2
	s_delay_alu instid0(VALU_DEP_1) | instskip(NEXT) | instid1(VALU_DEP_1)
	v_xor3_b32 v2, v2, v4, 0xc761c23c
	v_lshl_add_u32 v2, v2, 5, v2
	s_delay_alu instid0(VALU_DEP_1) | instskip(SKIP_1) | instid1(VALU_DEP_1)
	v_add_nc_u32_e32 v4, 0xe9f8cc1d, v2
	v_lshl_add_u32 v2, v2, 9, 0xaccf6200
	v_xor_b32_e32 v2, v4, v2
	s_delay_alu instid0(VALU_DEP_1) | instskip(NEXT) | instid1(VALU_DEP_1)
	v_lshlrev_b32_e32 v4, 3, v2
	v_add3_u32 v2, v2, v4, 0xfd7046c5
	s_delay_alu instid0(VALU_DEP_1) | instskip(NEXT) | instid1(VALU_DEP_1)
	v_lshrrev_b32_e32 v4, 16, v2
	v_xor3_b32 v2, v2, v4, 0xb55a4f09
	s_delay_alu instid0(VALU_DEP_1) | instskip(NEXT) | instid1(VALU_DEP_1)
	v_mul_hi_u32 v4, v2, 3
	v_sub_nc_u32_e32 v5, v2, v4
	s_delay_alu instid0(VALU_DEP_1) | instskip(NEXT) | instid1(VALU_DEP_1)
	v_lshrrev_b32_e32 v5, 1, v5
	v_add_nc_u32_e32 v4, v5, v4
	s_delay_alu instid0(VALU_DEP_1) | instskip(NEXT) | instid1(VALU_DEP_1)
	v_lshrrev_b32_e32 v4, 30, v4
	v_mul_lo_u32 v4, 0x7fffffff, v4
	s_delay_alu instid0(VALU_DEP_1) | instskip(NEXT) | instid1(VALU_DEP_1)
	v_sub_nc_u32_e32 v2, v2, v4
	v_max_u32_e32 v4, 1, v2
	v_mov_b32_e32 v2, 0
.LBB18_4:                               ; =>This Inner Loop Header: Depth=1
	s_delay_alu instid0(VALU_DEP_2) | instskip(SKIP_1) | instid1(VALU_DEP_2)
	v_mul_hi_u32 v5, 0xbc8f1391, v4
	s_add_co_i32 s6, s6, -2
	v_add_f32_e32 v10, 1.0, v2
	s_cmp_lg_u32 s6, 0
	s_delay_alu instid0(VALU_DEP_2) | instskip(NEXT) | instid1(VALU_DEP_1)
	v_lshrrev_b32_e32 v5, 15, v5
	v_mul_u32_u24_e32 v6, 0xadc8, v5
	s_delay_alu instid0(VALU_DEP_1) | instskip(SKIP_1) | instid1(VALU_DEP_2)
	v_sub_nc_u32_e32 v4, v4, v6
	v_mul_u32_u24_e32 v5, 0xd47, v5
	v_mul_lo_u32 v4, 0xbc8f, v4
	s_delay_alu instid0(VALU_DEP_2) | instskip(SKIP_1) | instid1(VALU_DEP_3)
	v_xor_b32_e32 v6, 0x7fffffff, v5
	v_sub_nc_u32_e32 v7, 0, v5
	v_cmp_lt_u32_e32 vcc_lo, v4, v5
	s_delay_alu instid0(VALU_DEP_2) | instskip(NEXT) | instid1(VALU_DEP_1)
	v_cndmask_b32_e32 v5, v7, v6, vcc_lo
	v_add_nc_u32_e32 v4, v5, v4
	s_delay_alu instid0(VALU_DEP_1) | instskip(NEXT) | instid1(VALU_DEP_1)
	v_mul_hi_u32 v5, 0xbc8f1391, v4
	v_lshrrev_b32_e32 v5, 15, v5
	s_delay_alu instid0(VALU_DEP_1) | instskip(SKIP_1) | instid1(VALU_DEP_2)
	v_mul_u32_u24_e32 v6, 0xadc8, v5
	v_mul_u32_u24_e32 v5, 0xd47, v5
	v_sub_nc_u32_e32 v6, v4, v6
	s_delay_alu instid0(VALU_DEP_2) | instskip(SKIP_1) | instid1(VALU_DEP_3)
	v_xor_b32_e32 v7, 0x7fffffff, v5
	v_add_nc_u32_e32 v4, -1, v4
	v_mul_lo_u32 v6, 0xbc8f, v6
	v_sub_nc_u32_e32 v8, 0, v5
	s_delay_alu instid0(VALU_DEP_2) | instskip(NEXT) | instid1(VALU_DEP_2)
	v_cmp_lt_u32_e32 vcc_lo, v6, v5
	v_cndmask_b32_e32 v5, v8, v7, vcc_lo
	s_delay_alu instid0(VALU_DEP_1) | instskip(NEXT) | instid1(VALU_DEP_1)
	v_add_nc_u32_e32 v5, v5, v6
	v_mul_hi_u32 v6, 0xbc8f1391, v5
	s_delay_alu instid0(VALU_DEP_1) | instskip(NEXT) | instid1(VALU_DEP_1)
	v_lshrrev_b32_e32 v6, 15, v6
	v_mul_u32_u24_e32 v7, 0xadc8, v6
	v_mul_u32_u24_e32 v6, 0xd47, v6
	s_delay_alu instid0(VALU_DEP_2) | instskip(NEXT) | instid1(VALU_DEP_2)
	v_sub_nc_u32_e32 v7, v5, v7
	v_xor_b32_e32 v8, 0x7fffffff, v6
	v_dual_sub_nc_u32 v9, 0, v6 :: v_dual_add_nc_u32 v5, -1, v5
	s_delay_alu instid0(VALU_DEP_3) | instskip(NEXT) | instid1(VALU_DEP_1)
	v_mul_lo_u32 v7, 0xbc8f, v7
	v_cmp_lt_u32_e32 vcc_lo, v7, v6
	s_delay_alu instid0(VALU_DEP_3) | instskip(NEXT) | instid1(VALU_DEP_1)
	v_cndmask_b32_e32 v6, v9, v8, vcc_lo
	v_add_nc_u32_e32 v8, v6, v7
	s_delay_alu instid0(VALU_DEP_1) | instskip(NEXT) | instid1(VALU_DEP_1)
	v_mul_hi_u32 v6, 0xbc8f1391, v8
	v_lshrrev_b32_e32 v6, 15, v6
	s_delay_alu instid0(VALU_DEP_1) | instskip(NEXT) | instid1(VALU_DEP_1)
	v_mul_u32_u24_e32 v7, 0xadc8, v6
	v_sub_nc_u32_e32 v7, v8, v7
	s_delay_alu instid0(VALU_DEP_1) | instskip(SKIP_2) | instid1(VALU_DEP_2)
	v_mul_lo_u32 v9, 0xbc8f, v7
	v_mul_u32_u24_e32 v7, 0xd47, v6
	v_cvt_f32_u32_e32 v6, v4
	v_xor_b32_e32 v4, 0x7fffffff, v7
	v_sub_nc_u32_e32 v11, 0, v7
	v_cmp_lt_u32_e32 vcc_lo, v9, v7
	v_cvt_f32_u32_e32 v7, v5
	v_add_nc_u32_e32 v5, -1, v8
	s_delay_alu instid0(VALU_DEP_2) | instskip(NEXT) | instid1(VALU_DEP_2)
	v_pk_fma_f32 v[6:7], v[6:7], s[4:5], 0 op_sel_hi:[1,0,0]
	v_cvt_f32_u32_e32 v8, v5
	s_delay_alu instid0(VALU_DEP_2) | instskip(NEXT) | instid1(VALU_DEP_1)
	v_pk_mul_f32 v[6:7], v[6:7], v[6:7]
	v_dual_cndmask_b32 v4, v11, v4 :: v_dual_add_f32 v5, v6, v7
	s_delay_alu instid0(VALU_DEP_1) | instskip(NEXT) | instid1(VALU_DEP_2)
	v_add_nc_u32_e32 v4, v4, v9
	v_cmp_gt_f32_e32 vcc_lo, 0xf800000, v5
	s_delay_alu instid0(VALU_DEP_2) | instskip(NEXT) | instid1(VALU_DEP_1)
	v_add_nc_u32_e32 v9, -1, v4
	v_cvt_f32_u32_e32 v9, v9
	s_delay_alu instid0(VALU_DEP_1) | instskip(SKIP_1) | instid1(VALU_DEP_2)
	v_pk_fma_f32 v[6:7], v[8:9], s[4:5], 0 op_sel_hi:[1,0,0]
	v_mul_f32_e32 v8, 0x4f800000, v5
	v_pk_mul_f32 v[6:7], v[6:7], v[6:7]
	s_delay_alu instid0(VALU_DEP_1) | instskip(NEXT) | instid1(VALU_DEP_1)
	v_dual_add_f32 v6, v6, v7 :: v_dual_cndmask_b32 v5, v5, v8
	v_mul_f32_e32 v8, 0x4f800000, v6
	s_delay_alu instid0(VALU_DEP_2)
	v_sqrt_f32_e32 v7, v5
	v_cmp_gt_f32_e64 s2, 0xf800000, v6
	s_delay_alu instid0(TRANS32_DEP_1) | instid1(VALU_DEP_1)
	v_dual_cndmask_b32 v6, v6, v8, s2 :: v_dual_add_nc_u32 v9, -1, v7
	v_add_nc_u32_e32 v8, 1, v7
	s_delay_alu instid0(VALU_DEP_2) | instskip(NEXT) | instid1(VALU_DEP_2)
	v_sqrt_f32_e32 v12, v6
	v_fma_f32 v11, -v9, v7, v5
	s_delay_alu instid0(VALU_DEP_1) | instskip(NEXT) | instid1(VALU_DEP_1)
	v_cmp_ge_f32_e64 s3, 0, v11
	v_dual_fma_f32 v13, -v8, v7, v5 :: v_dual_cndmask_b32 v7, v7, v9, s3
	s_delay_alu instid0(VALU_DEP_1) | instskip(NEXT) | instid1(TRANS32_DEP_1)
	v_cmp_lt_f32_e64 s3, 0, v13
	v_add_nc_u32_e32 v9, -1, v12
	s_delay_alu instid0(VALU_DEP_2) | instskip(NEXT) | instid1(VALU_DEP_2)
	v_cndmask_b32_e64 v7, v7, v8, s3
	v_dual_add_nc_u32 v8, 1, v12 :: v_dual_fma_f32 v11, -v9, v12, v6
	s_delay_alu instid0(VALU_DEP_1) | instskip(NEXT) | instid1(VALU_DEP_2)
	v_fma_f32 v14, -v8, v12, v6
	v_cmp_ge_f32_e64 s3, 0, v11
	s_delay_alu instid0(VALU_DEP_1) | instskip(SKIP_1) | instid1(VALU_DEP_4)
	v_cndmask_b32_e64 v9, v12, v9, s3
	v_mul_f32_e32 v13, 0x37800000, v7
	v_cmp_lt_f32_e64 s3, 0, v14
	s_delay_alu instid0(VALU_DEP_1) | instskip(SKIP_1) | instid1(VALU_DEP_2)
	v_dual_cndmask_b32 v7, v7, v13, vcc_lo :: v_dual_cndmask_b32 v8, v9, v8, s3
	v_cmp_class_f32_e64 vcc_lo, v5, 0x260
	v_cndmask_b32_e32 v5, v7, v5, vcc_lo
	s_delay_alu instid0(VALU_DEP_3) | instskip(NEXT) | instid1(VALU_DEP_2)
	v_mul_f32_e32 v7, 0x37800000, v8
	v_cmp_nge_f32_e32 vcc_lo, 1.0, v5
	s_delay_alu instid0(VALU_DEP_2) | instskip(SKIP_1) | instid1(VALU_DEP_2)
	v_dual_cndmask_b32 v2, v10, v2, vcc_lo :: v_dual_cndmask_b32 v5, v8, v7, s2
	v_cmp_class_f32_e64 vcc_lo, v6, 0x260
	v_add_f32_e32 v7, 1.0, v2
	s_delay_alu instid0(VALU_DEP_3) | instskip(NEXT) | instid1(VALU_DEP_1)
	v_cndmask_b32_e32 v5, v5, v6, vcc_lo
	v_cmp_nge_f32_e32 vcc_lo, 1.0, v5
	s_delay_alu instid0(VALU_DEP_3)
	v_cndmask_b32_e32 v2, v7, v2, vcc_lo
	s_cbranch_scc1 .LBB18_4
; %bb.5:
	v_add_nc_u32_e32 v4, 0x7ef55f16, v3
	s_movk_i32 s6, 0x2710
	s_brev_b32 s4, 12
	s_delay_alu instid0(VALU_DEP_1) | instskip(NEXT) | instid1(VALU_DEP_1)
	v_lshrrev_b32_e32 v5, 19, v4
	v_xor3_b32 v4, v4, v5, 0xc761c23c
	s_delay_alu instid0(VALU_DEP_1) | instskip(NEXT) | instid1(VALU_DEP_1)
	v_lshl_add_u32 v4, v4, 5, v4
	v_add_nc_u32_e32 v5, 0xe9f8cc1d, v4
	v_lshl_add_u32 v4, v4, 9, 0xaccf6200
	s_delay_alu instid0(VALU_DEP_1) | instskip(NEXT) | instid1(VALU_DEP_1)
	v_xor_b32_e32 v4, v5, v4
	v_lshlrev_b32_e32 v5, 3, v4
	s_delay_alu instid0(VALU_DEP_1) | instskip(NEXT) | instid1(VALU_DEP_1)
	v_add3_u32 v4, v4, v5, 0xfd7046c5
	v_lshrrev_b32_e32 v5, 16, v4
	s_delay_alu instid0(VALU_DEP_1) | instskip(NEXT) | instid1(VALU_DEP_1)
	v_xor3_b32 v4, v4, v5, 0xb55a4f09
	v_mul_hi_u32 v5, v4, 3
	s_delay_alu instid0(VALU_DEP_1) | instskip(NEXT) | instid1(VALU_DEP_1)
	v_sub_nc_u32_e32 v6, v4, v5
	v_lshrrev_b32_e32 v6, 1, v6
	s_delay_alu instid0(VALU_DEP_1) | instskip(NEXT) | instid1(VALU_DEP_1)
	v_add_nc_u32_e32 v5, v6, v5
	v_lshrrev_b32_e32 v5, 30, v5
	s_delay_alu instid0(VALU_DEP_1) | instskip(NEXT) | instid1(VALU_DEP_1)
	v_mul_lo_u32 v5, 0x7fffffff, v5
	v_sub_nc_u32_e32 v4, v4, v5
	s_delay_alu instid0(VALU_DEP_1)
	v_max_u32_e32 v5, 1, v4
	v_mov_b32_e32 v4, 0
.LBB18_6:                               ; =>This Inner Loop Header: Depth=1
	s_delay_alu instid0(VALU_DEP_2) | instskip(SKIP_1) | instid1(SALU_CYCLE_1)
	v_mul_hi_u32 v6, 0xbc8f1391, v5
	s_add_co_i32 s6, s6, -2
	s_cmp_lg_u32 s6, 0
	s_delay_alu instid0(VALU_DEP_1) | instskip(NEXT) | instid1(VALU_DEP_1)
	v_lshrrev_b32_e32 v6, 15, v6
	v_mul_u32_u24_e32 v7, 0xadc8, v6
	s_delay_alu instid0(VALU_DEP_1) | instskip(SKIP_1) | instid1(VALU_DEP_2)
	v_sub_nc_u32_e32 v5, v5, v7
	v_mul_u32_u24_e32 v6, 0xd47, v6
	v_mul_lo_u32 v5, 0xbc8f, v5
	s_delay_alu instid0(VALU_DEP_2) | instskip(SKIP_1) | instid1(VALU_DEP_3)
	v_xor_b32_e32 v7, 0x7fffffff, v6
	v_sub_nc_u32_e32 v8, 0, v6
	v_cmp_lt_u32_e32 vcc_lo, v5, v6
	s_delay_alu instid0(VALU_DEP_2) | instskip(NEXT) | instid1(VALU_DEP_1)
	v_cndmask_b32_e32 v6, v8, v7, vcc_lo
	v_add_nc_u32_e32 v5, v6, v5
	s_delay_alu instid0(VALU_DEP_1) | instskip(NEXT) | instid1(VALU_DEP_1)
	v_mul_hi_u32 v6, 0xbc8f1391, v5
	v_lshrrev_b32_e32 v6, 15, v6
	s_delay_alu instid0(VALU_DEP_1) | instskip(SKIP_1) | instid1(VALU_DEP_2)
	v_mul_u32_u24_e32 v7, 0xadc8, v6
	v_mul_u32_u24_e32 v6, 0xd47, v6
	v_sub_nc_u32_e32 v7, v5, v7
	s_delay_alu instid0(VALU_DEP_2) | instskip(SKIP_1) | instid1(VALU_DEP_3)
	v_xor_b32_e32 v8, 0x7fffffff, v6
	v_add_nc_u32_e32 v5, -1, v5
	v_mul_lo_u32 v7, 0xbc8f, v7
	v_sub_nc_u32_e32 v9, 0, v6
	s_delay_alu instid0(VALU_DEP_2) | instskip(NEXT) | instid1(VALU_DEP_2)
	v_cmp_lt_u32_e32 vcc_lo, v7, v6
	v_cndmask_b32_e32 v6, v9, v8, vcc_lo
	s_delay_alu instid0(VALU_DEP_1) | instskip(NEXT) | instid1(VALU_DEP_1)
	v_add_nc_u32_e32 v7, v6, v7
	v_mul_hi_u32 v6, 0xbc8f1391, v7
	s_delay_alu instid0(VALU_DEP_1) | instskip(NEXT) | instid1(VALU_DEP_1)
	v_lshrrev_b32_e32 v6, 15, v6
	v_mul_u32_u24_e32 v8, 0xadc8, v6
	v_mul_u32_u24_e32 v6, 0xd47, v6
	s_delay_alu instid0(VALU_DEP_2) | instskip(NEXT) | instid1(VALU_DEP_2)
	v_sub_nc_u32_e32 v8, v7, v8
	v_xor_b32_e32 v9, 0x7fffffff, v6
	s_delay_alu instid0(VALU_DEP_2) | instskip(SKIP_1) | instid1(VALU_DEP_2)
	v_mul_lo_u32 v8, 0xbc8f, v8
	v_sub_nc_u32_e32 v10, 0, v6
	v_cmp_lt_u32_e32 vcc_lo, v8, v6
	s_delay_alu instid0(VALU_DEP_2) | instskip(NEXT) | instid1(VALU_DEP_1)
	v_dual_cndmask_b32 v6, v10, v9, vcc_lo :: v_dual_add_f32 v10, 1.0, v4
	v_add_nc_u32_e32 v8, v6, v8
	s_delay_alu instid0(VALU_DEP_1) | instskip(NEXT) | instid1(VALU_DEP_1)
	v_mul_hi_u32 v6, 0xbc8f1391, v8
	v_lshrrev_b32_e32 v6, 15, v6
	s_delay_alu instid0(VALU_DEP_1) | instskip(SKIP_2) | instid1(VALU_DEP_3)
	v_mul_u32_u24_e32 v9, 0xadc8, v6
	v_mul_u32_u24_e32 v11, 0xd47, v6
	v_cvt_f32_u32_e32 v6, v5
	v_sub_nc_u32_e32 v9, v8, v9
	s_delay_alu instid0(VALU_DEP_3) | instskip(SKIP_1) | instid1(VALU_DEP_3)
	v_xor_b32_e32 v5, 0x7fffffff, v11
	v_dual_sub_nc_u32 v12, 0, v11 :: v_dual_add_nc_u32 v8, -1, v8
	v_mul_lo_u32 v9, 0xbc8f, v9
	s_delay_alu instid0(VALU_DEP_2) | instskip(NEXT) | instid1(VALU_DEP_2)
	v_cvt_f32_u32_e32 v8, v8
	v_cmp_lt_u32_e32 vcc_lo, v9, v11
	s_delay_alu instid0(VALU_DEP_4) | instskip(NEXT) | instid1(VALU_DEP_1)
	v_dual_add_nc_u32 v7, -1, v7 :: v_dual_cndmask_b32 v5, v12, v5, vcc_lo
	v_cvt_f32_u32_e32 v7, v7
	s_delay_alu instid0(VALU_DEP_2) | instskip(NEXT) | instid1(VALU_DEP_2)
	v_add_nc_u32_e32 v5, v5, v9
	v_pk_fma_f32 v[6:7], v[6:7], s[4:5], 0 op_sel_hi:[1,0,0]
	s_delay_alu instid0(VALU_DEP_1) | instskip(NEXT) | instid1(VALU_DEP_1)
	v_pk_mul_f32 v[6:7], v[6:7], v[6:7]
	v_dual_add_nc_u32 v9, -1, v5 :: v_dual_add_f32 v11, v6, v7
	s_delay_alu instid0(VALU_DEP_1) | instskip(NEXT) | instid1(VALU_DEP_2)
	v_cvt_f32_u32_e32 v9, v9
	v_cmp_gt_f32_e32 vcc_lo, 0xf800000, v11
	s_delay_alu instid0(VALU_DEP_2) | instskip(NEXT) | instid1(VALU_DEP_1)
	v_pk_fma_f32 v[6:7], v[8:9], s[4:5], 0 op_sel_hi:[1,0,0]
	v_pk_mul_f32 v[6:7], v[6:7], v[6:7]
	s_delay_alu instid0(VALU_DEP_1) | instskip(NEXT) | instid1(VALU_DEP_1)
	v_add_f32_e32 v6, v6, v7
	v_dual_mul_f32 v8, 0x4f800000, v11 :: v_dual_mul_f32 v9, 0x4f800000, v6
	s_delay_alu instid0(VALU_DEP_1) | instskip(SKIP_1) | instid1(VALU_DEP_2)
	v_cndmask_b32_e32 v8, v11, v8, vcc_lo
	v_cmp_gt_f32_e64 s2, 0xf800000, v6
	v_sqrt_f32_e32 v7, v8
	v_nop
	s_delay_alu instid0(TRANS32_DEP_1) | instskip(NEXT) | instid1(VALU_DEP_1)
	v_dual_add_nc_u32 v11, -1, v7 :: v_dual_cndmask_b32 v6, v6, v9, s2
	v_dual_add_nc_u32 v9, 1, v7 :: v_dual_fma_f32 v12, -v11, v7, v8
	s_delay_alu instid0(VALU_DEP_2) | instskip(NEXT) | instid1(VALU_DEP_1)
	v_sqrt_f32_e32 v13, v6
	v_fma_f32 v14, -v9, v7, v8
	s_delay_alu instid0(VALU_DEP_2)
	v_cmp_ge_f32_e64 s3, 0, v12
	s_delay_alu instid0(TRANS32_DEP_1) | instid1(VALU_DEP_1)
	v_dual_cndmask_b32 v7, v7, v11, s3 :: v_dual_add_nc_u32 v11, -1, v13
	s_delay_alu instid0(VALU_DEP_3) | instskip(NEXT) | instid1(VALU_DEP_1)
	v_cmp_lt_f32_e64 s3, 0, v14
	v_cndmask_b32_e64 v7, v7, v9, s3
	s_delay_alu instid0(VALU_DEP_3) | instskip(NEXT) | instid1(VALU_DEP_1)
	v_dual_add_nc_u32 v9, 1, v13 :: v_dual_fma_f32 v12, -v11, v13, v6
	v_fma_f32 v15, -v9, v13, v6
	s_delay_alu instid0(VALU_DEP_2) | instskip(NEXT) | instid1(VALU_DEP_1)
	v_cmp_ge_f32_e64 s3, 0, v12
	v_cndmask_b32_e64 v11, v13, v11, s3
	v_mul_f32_e32 v14, 0x37800000, v7
	s_delay_alu instid0(VALU_DEP_4) | instskip(NEXT) | instid1(VALU_DEP_1)
	v_cmp_lt_f32_e64 s3, 0, v15
	v_cndmask_b32_e64 v9, v11, v9, s3
	s_delay_alu instid0(VALU_DEP_3) | instskip(SKIP_1) | instid1(VALU_DEP_2)
	v_cndmask_b32_e32 v7, v7, v14, vcc_lo
	v_cmp_class_f32_e64 vcc_lo, v8, 0x260
	v_cndmask_b32_e32 v7, v7, v8, vcc_lo
	s_delay_alu instid0(VALU_DEP_1) | instskip(SKIP_3) | instid1(VALU_DEP_2)
	v_cmp_nge_f32_e32 vcc_lo, 1.0, v7
	v_cndmask_b32_e32 v4, v10, v4, vcc_lo
	v_mul_f32_e32 v8, 0x37800000, v9
	v_cmp_class_f32_e64 vcc_lo, v6, 0x260
	v_cndmask_b32_e64 v7, v9, v8, s2
	s_delay_alu instid0(VALU_DEP_1) | instskip(NEXT) | instid1(VALU_DEP_1)
	v_dual_add_f32 v8, 1.0, v4 :: v_dual_cndmask_b32 v6, v7, v6, vcc_lo
	v_cmp_nge_f32_e32 vcc_lo, 1.0, v6
	s_delay_alu instid0(VALU_DEP_2)
	v_cndmask_b32_e32 v4, v8, v4, vcc_lo
	s_cbranch_scc1 .LBB18_6
; %bb.7:
	v_add_nc_u32_e32 v3, 0x7f056016, v3
	s_movk_i32 s6, 0x2710
	s_brev_b32 s4, 12
	s_delay_alu instid0(VALU_DEP_1) | instskip(NEXT) | instid1(VALU_DEP_1)
	v_lshrrev_b32_e32 v5, 19, v3
	v_xor3_b32 v3, v3, v5, 0xc761c23c
	s_delay_alu instid0(VALU_DEP_1) | instskip(NEXT) | instid1(VALU_DEP_1)
	v_lshl_add_u32 v3, v3, 5, v3
	v_add_nc_u32_e32 v5, 0xe9f8cc1d, v3
	v_lshl_add_u32 v3, v3, 9, 0xaccf6200
	s_delay_alu instid0(VALU_DEP_1) | instskip(NEXT) | instid1(VALU_DEP_1)
	v_xor_b32_e32 v3, v5, v3
	v_lshlrev_b32_e32 v5, 3, v3
	s_delay_alu instid0(VALU_DEP_1) | instskip(NEXT) | instid1(VALU_DEP_1)
	v_add3_u32 v3, v3, v5, 0xfd7046c5
	v_lshrrev_b32_e32 v5, 16, v3
	s_delay_alu instid0(VALU_DEP_1) | instskip(NEXT) | instid1(VALU_DEP_1)
	v_xor3_b32 v3, v3, v5, 0xb55a4f09
	v_mul_hi_u32 v5, v3, 3
	s_delay_alu instid0(VALU_DEP_1) | instskip(NEXT) | instid1(VALU_DEP_1)
	v_sub_nc_u32_e32 v6, v3, v5
	v_lshrrev_b32_e32 v6, 1, v6
	s_delay_alu instid0(VALU_DEP_1) | instskip(NEXT) | instid1(VALU_DEP_1)
	v_add_nc_u32_e32 v5, v6, v5
	v_lshrrev_b32_e32 v5, 30, v5
	s_delay_alu instid0(VALU_DEP_1) | instskip(NEXT) | instid1(VALU_DEP_1)
	v_mul_lo_u32 v5, 0x7fffffff, v5
	v_sub_nc_u32_e32 v3, v3, v5
	s_delay_alu instid0(VALU_DEP_1)
	v_max_u32_e32 v5, 1, v3
	v_mov_b32_e32 v3, 0
.LBB18_8:                               ; =>This Inner Loop Header: Depth=1
	s_delay_alu instid0(VALU_DEP_2) | instskip(SKIP_1) | instid1(SALU_CYCLE_1)
	v_mul_hi_u32 v6, 0xbc8f1391, v5
	s_add_co_i32 s6, s6, -2
	s_cmp_lg_u32 s6, 0
	s_delay_alu instid0(VALU_DEP_1) | instskip(NEXT) | instid1(VALU_DEP_1)
	v_lshrrev_b32_e32 v6, 15, v6
	v_mul_u32_u24_e32 v7, 0xadc8, v6
	s_delay_alu instid0(VALU_DEP_1) | instskip(SKIP_1) | instid1(VALU_DEP_2)
	v_sub_nc_u32_e32 v5, v5, v7
	v_mul_u32_u24_e32 v6, 0xd47, v6
	v_mul_lo_u32 v5, 0xbc8f, v5
	s_delay_alu instid0(VALU_DEP_2) | instskip(SKIP_1) | instid1(VALU_DEP_3)
	v_xor_b32_e32 v7, 0x7fffffff, v6
	v_sub_nc_u32_e32 v8, 0, v6
	v_cmp_lt_u32_e32 vcc_lo, v5, v6
	s_delay_alu instid0(VALU_DEP_2) | instskip(NEXT) | instid1(VALU_DEP_1)
	v_cndmask_b32_e32 v6, v8, v7, vcc_lo
	v_add_nc_u32_e32 v5, v6, v5
	s_delay_alu instid0(VALU_DEP_1) | instskip(NEXT) | instid1(VALU_DEP_1)
	v_mul_hi_u32 v6, 0xbc8f1391, v5
	v_lshrrev_b32_e32 v6, 15, v6
	s_delay_alu instid0(VALU_DEP_1) | instskip(SKIP_1) | instid1(VALU_DEP_2)
	v_mul_u32_u24_e32 v7, 0xadc8, v6
	v_mul_u32_u24_e32 v6, 0xd47, v6
	v_sub_nc_u32_e32 v7, v5, v7
	s_delay_alu instid0(VALU_DEP_2) | instskip(SKIP_1) | instid1(VALU_DEP_3)
	v_xor_b32_e32 v8, 0x7fffffff, v6
	v_add_nc_u32_e32 v5, -1, v5
	v_mul_lo_u32 v7, 0xbc8f, v7
	v_sub_nc_u32_e32 v9, 0, v6
	s_delay_alu instid0(VALU_DEP_2) | instskip(NEXT) | instid1(VALU_DEP_2)
	v_cmp_lt_u32_e32 vcc_lo, v7, v6
	v_cndmask_b32_e32 v6, v9, v8, vcc_lo
	s_delay_alu instid0(VALU_DEP_1) | instskip(NEXT) | instid1(VALU_DEP_1)
	v_add_nc_u32_e32 v7, v6, v7
	v_mul_hi_u32 v6, 0xbc8f1391, v7
	s_delay_alu instid0(VALU_DEP_1) | instskip(NEXT) | instid1(VALU_DEP_1)
	v_lshrrev_b32_e32 v6, 15, v6
	v_mul_u32_u24_e32 v8, 0xadc8, v6
	v_mul_u32_u24_e32 v6, 0xd47, v6
	s_delay_alu instid0(VALU_DEP_2) | instskip(NEXT) | instid1(VALU_DEP_2)
	v_sub_nc_u32_e32 v8, v7, v8
	v_xor_b32_e32 v9, 0x7fffffff, v6
	s_delay_alu instid0(VALU_DEP_2) | instskip(SKIP_1) | instid1(VALU_DEP_2)
	v_mul_lo_u32 v8, 0xbc8f, v8
	v_sub_nc_u32_e32 v10, 0, v6
	v_cmp_lt_u32_e32 vcc_lo, v8, v6
	s_delay_alu instid0(VALU_DEP_2) | instskip(NEXT) | instid1(VALU_DEP_1)
	v_dual_cndmask_b32 v6, v10, v9, vcc_lo :: v_dual_add_f32 v10, 1.0, v3
	v_add_nc_u32_e32 v8, v6, v8
	s_delay_alu instid0(VALU_DEP_1) | instskip(NEXT) | instid1(VALU_DEP_1)
	v_mul_hi_u32 v6, 0xbc8f1391, v8
	v_lshrrev_b32_e32 v6, 15, v6
	s_delay_alu instid0(VALU_DEP_1) | instskip(SKIP_2) | instid1(VALU_DEP_3)
	v_mul_u32_u24_e32 v9, 0xadc8, v6
	v_mul_u32_u24_e32 v11, 0xd47, v6
	v_cvt_f32_u32_e32 v6, v5
	v_sub_nc_u32_e32 v9, v8, v9
	s_delay_alu instid0(VALU_DEP_3) | instskip(SKIP_1) | instid1(VALU_DEP_3)
	v_xor_b32_e32 v5, 0x7fffffff, v11
	v_dual_sub_nc_u32 v12, 0, v11 :: v_dual_add_nc_u32 v8, -1, v8
	v_mul_lo_u32 v9, 0xbc8f, v9
	s_delay_alu instid0(VALU_DEP_2) | instskip(NEXT) | instid1(VALU_DEP_2)
	v_cvt_f32_u32_e32 v8, v8
	v_cmp_lt_u32_e32 vcc_lo, v9, v11
	s_delay_alu instid0(VALU_DEP_4) | instskip(NEXT) | instid1(VALU_DEP_1)
	v_dual_add_nc_u32 v7, -1, v7 :: v_dual_cndmask_b32 v5, v12, v5, vcc_lo
	v_cvt_f32_u32_e32 v7, v7
	s_delay_alu instid0(VALU_DEP_2) | instskip(NEXT) | instid1(VALU_DEP_2)
	v_add_nc_u32_e32 v5, v5, v9
	v_pk_fma_f32 v[6:7], v[6:7], s[4:5], 0 op_sel_hi:[1,0,0]
	s_delay_alu instid0(VALU_DEP_1) | instskip(NEXT) | instid1(VALU_DEP_1)
	v_pk_mul_f32 v[6:7], v[6:7], v[6:7]
	v_dual_add_nc_u32 v9, -1, v5 :: v_dual_add_f32 v11, v6, v7
	s_delay_alu instid0(VALU_DEP_1) | instskip(NEXT) | instid1(VALU_DEP_2)
	v_cvt_f32_u32_e32 v9, v9
	v_cmp_gt_f32_e32 vcc_lo, 0xf800000, v11
	s_delay_alu instid0(VALU_DEP_2) | instskip(NEXT) | instid1(VALU_DEP_1)
	v_pk_fma_f32 v[6:7], v[8:9], s[4:5], 0 op_sel_hi:[1,0,0]
	v_pk_mul_f32 v[6:7], v[6:7], v[6:7]
	s_delay_alu instid0(VALU_DEP_1) | instskip(NEXT) | instid1(VALU_DEP_1)
	v_add_f32_e32 v6, v6, v7
	v_dual_mul_f32 v8, 0x4f800000, v11 :: v_dual_mul_f32 v9, 0x4f800000, v6
	s_delay_alu instid0(VALU_DEP_1) | instskip(SKIP_1) | instid1(VALU_DEP_2)
	v_cndmask_b32_e32 v8, v11, v8, vcc_lo
	v_cmp_gt_f32_e64 s2, 0xf800000, v6
	v_sqrt_f32_e32 v7, v8
	v_nop
	s_delay_alu instid0(TRANS32_DEP_1) | instskip(NEXT) | instid1(VALU_DEP_1)
	v_dual_add_nc_u32 v11, -1, v7 :: v_dual_cndmask_b32 v6, v6, v9, s2
	v_dual_add_nc_u32 v9, 1, v7 :: v_dual_fma_f32 v12, -v11, v7, v8
	s_delay_alu instid0(VALU_DEP_2) | instskip(NEXT) | instid1(VALU_DEP_1)
	v_sqrt_f32_e32 v13, v6
	v_fma_f32 v14, -v9, v7, v8
	s_delay_alu instid0(VALU_DEP_2)
	v_cmp_ge_f32_e64 s3, 0, v12
	s_delay_alu instid0(TRANS32_DEP_1) | instid1(VALU_DEP_1)
	v_dual_cndmask_b32 v7, v7, v11, s3 :: v_dual_add_nc_u32 v11, -1, v13
	s_delay_alu instid0(VALU_DEP_3) | instskip(NEXT) | instid1(VALU_DEP_1)
	v_cmp_lt_f32_e64 s3, 0, v14
	v_cndmask_b32_e64 v7, v7, v9, s3
	s_delay_alu instid0(VALU_DEP_3) | instskip(NEXT) | instid1(VALU_DEP_1)
	v_dual_add_nc_u32 v9, 1, v13 :: v_dual_fma_f32 v12, -v11, v13, v6
	v_fma_f32 v15, -v9, v13, v6
	s_delay_alu instid0(VALU_DEP_2) | instskip(NEXT) | instid1(VALU_DEP_1)
	v_cmp_ge_f32_e64 s3, 0, v12
	v_cndmask_b32_e64 v11, v13, v11, s3
	v_mul_f32_e32 v14, 0x37800000, v7
	s_delay_alu instid0(VALU_DEP_4) | instskip(NEXT) | instid1(VALU_DEP_1)
	v_cmp_lt_f32_e64 s3, 0, v15
	v_cndmask_b32_e64 v9, v11, v9, s3
	s_delay_alu instid0(VALU_DEP_3) | instskip(SKIP_1) | instid1(VALU_DEP_2)
	v_cndmask_b32_e32 v7, v7, v14, vcc_lo
	v_cmp_class_f32_e64 vcc_lo, v8, 0x260
	v_cndmask_b32_e32 v7, v7, v8, vcc_lo
	s_delay_alu instid0(VALU_DEP_1) | instskip(SKIP_2) | instid1(VALU_DEP_2)
	v_cmp_nge_f32_e32 vcc_lo, 1.0, v7
	v_dual_cndmask_b32 v3, v10, v3 :: v_dual_mul_f32 v8, 0x37800000, v9
	v_cmp_class_f32_e64 vcc_lo, v6, 0x260
	v_dual_cndmask_b32 v7, v9, v8, s2 :: v_dual_add_f32 v8, 1.0, v3
	s_delay_alu instid0(VALU_DEP_1) | instskip(NEXT) | instid1(VALU_DEP_1)
	v_cndmask_b32_e32 v6, v7, v6, vcc_lo
	v_cmp_nge_f32_e32 vcc_lo, 1.0, v6
	s_delay_alu instid0(VALU_DEP_3)
	v_cndmask_b32_e32 v3, v8, v3, vcc_lo
	s_cbranch_scc1 .LBB18_8
; %bb.9:
	v_dual_mul_f32 v1, 4.0, v1 :: v_dual_mul_f32 v2, 4.0, v2
	s_delay_alu instid0(VALU_DEP_2) | instskip(NEXT) | instid1(VALU_DEP_2)
	v_dual_mul_f32 v4, 4.0, v4 :: v_dual_mul_f32 v3, 4.0, v3
	v_div_scale_f32 v5, null, 0x461c4000, 0x461c4000, v1
	s_delay_alu instid0(VALU_DEP_3) | instskip(NEXT) | instid1(VALU_DEP_3)
	v_div_scale_f32 v6, null, 0x461c4000, 0x461c4000, v2
	v_div_scale_f32 v7, null, 0x461c4000, 0x461c4000, v4
	s_delay_alu instid0(VALU_DEP_3) | instskip(NEXT) | instid1(VALU_DEP_2)
	v_rcp_f32_e32 v8, v5
	v_rcp_f32_e32 v9, v6
	v_div_scale_f32 v10, null, 0x461c4000, 0x461c4000, v3
	s_delay_alu instid0(VALU_DEP_2) | instskip(SKIP_1) | instid1(TRANS32_DEP_3)
	v_rcp_f32_e32 v12, v7
	v_div_scale_f32 v11, vcc_lo, v1, 0x461c4000, v1
	v_fma_f32 v13, -v5, v8, 1.0
	s_delay_alu instid0(TRANS32_DEP_2) | instskip(SKIP_2) | instid1(VALU_DEP_2)
	v_fma_f32 v14, -v6, v9, 1.0
	v_rcp_f32_e32 v15, v10
	v_div_scale_f32 v16, s2, v2, 0x461c4000, v2
	v_dual_fmac_f32 v8, v13, v8 :: v_dual_fmac_f32 v9, v14, v9
	v_fma_f32 v13, -v7, v12, 1.0
	s_delay_alu instid0(TRANS32_DEP_1) | instskip(NEXT) | instid1(VALU_DEP_3)
	v_fma_f32 v14, -v10, v15, 1.0
	v_dual_mul_f32 v17, v11, v8 :: v_dual_mul_f32 v18, v16, v9
	s_delay_alu instid0(VALU_DEP_3) | instskip(SKIP_1) | instid1(VALU_DEP_3)
	v_fmac_f32_e32 v12, v13, v12
	v_div_scale_f32 v13, s3, v4, 0x461c4000, v4
	v_dual_fma_f32 v19, -v5, v17, v11 :: v_dual_fma_f32 v20, -v6, v18, v16
	v_fmac_f32_e32 v15, v14, v15
	v_div_scale_f32 v14, s4, v3, 0x461c4000, v3
	s_delay_alu instid0(VALU_DEP_4) | instskip(NEXT) | instid1(VALU_DEP_4)
	v_mul_f32_e32 v21, v13, v12
	v_dual_fmac_f32 v17, v19, v8 :: v_dual_fmac_f32 v18, v20, v9
	s_delay_alu instid0(VALU_DEP_2) | instskip(NEXT) | instid1(VALU_DEP_2)
	v_dual_mul_f32 v22, v14, v15 :: v_dual_fma_f32 v19, -v7, v21, v13
	v_dual_fma_f32 v5, -v5, v17, v11 :: v_dual_fma_f32 v6, -v6, v18, v16
	s_delay_alu instid0(VALU_DEP_2) | instskip(NEXT) | instid1(VALU_DEP_2)
	v_dual_fma_f32 v20, -v10, v22, v14 :: v_dual_fmac_f32 v21, v19, v12
	v_div_fmas_f32 v5, v5, v8, v17
	s_mov_b32 vcc_lo, s2
	s_delay_alu instid0(VALU_DEP_2)
	v_fmac_f32_e32 v22, v20, v15
	v_div_fmas_f32 v6, v6, v9, v18
	v_fma_f32 v7, -v7, v21, v13
	s_mov_b32 vcc_lo, s3
	v_div_fixup_f32 v1, v5, 0x461c4000, v1
	v_fma_f32 v8, -v10, v22, v14
	v_div_fixup_f32 v2, v6, 0x461c4000, v2
	v_div_fmas_f32 v5, v7, v12, v21
	s_mov_b32 vcc_lo, s4
	s_mov_b32 s2, exec_lo
	v_div_fmas_f32 v6, v8, v15, v22
	v_add_f32_e32 v1, v1, v2
	v_div_fixup_f32 v4, v5, 0x461c4000, v4
	s_delay_alu instid0(VALU_DEP_3) | instskip(NEXT) | instid1(VALU_DEP_2)
	v_div_fixup_f32 v2, v6, 0x461c4000, v3
	v_add_f32_e32 v1, v1, v4
	s_delay_alu instid0(VALU_DEP_1) | instskip(NEXT) | instid1(VALU_DEP_1)
	v_add_f32_e32 v1, v1, v2
	v_mov_b32_dpp v2, v1 quad_perm:[1,0,3,2] row_mask:0xf bank_mask:0xf
	s_delay_alu instid0(VALU_DEP_1) | instskip(NEXT) | instid1(VALU_DEP_1)
	v_add_f32_e32 v1, v1, v2
	v_mov_b32_dpp v2, v1 quad_perm:[2,3,0,1] row_mask:0xf bank_mask:0xf
	s_delay_alu instid0(VALU_DEP_1) | instskip(NEXT) | instid1(VALU_DEP_1)
	v_add_f32_e32 v1, v1, v2
	v_mov_b32_dpp v2, v1 row_ror:4 row_mask:0xf bank_mask:0xf
	s_delay_alu instid0(VALU_DEP_1) | instskip(NEXT) | instid1(VALU_DEP_1)
	v_add_f32_e32 v1, v1, v2
	v_mov_b32_dpp v2, v1 row_ror:8 row_mask:0xf bank_mask:0xf
	s_delay_alu instid0(VALU_DEP_1)
	v_add_f32_e32 v1, v1, v2
	ds_swizzle_b32 v2, v1 offset:swizzle(BROADCAST,32,15)
	s_wait_dscnt 0x0
	v_dual_add_f32 v1, v1, v2 :: v_dual_mov_b32 v2, 0
	ds_bpermute_b32 v2, v2, v1 offset:124
	v_mbcnt_lo_u32_b32 v1, -1, 0
	s_delay_alu instid0(VALU_DEP_1)
	v_cmpx_eq_u32_e32 0, v1
	s_cbranch_execz .LBB18_11
; %bb.10:
	v_lshrrev_b32_e32 v3, 3, v0
	s_delay_alu instid0(VALU_DEP_1)
	v_and_b32_e32 v3, 28, v3
	s_wait_dscnt 0x0
	ds_store_b32 v3, v2
.LBB18_11:
	s_or_b32 exec_lo, exec_lo, s2
	s_delay_alu instid0(SALU_CYCLE_1)
	s_mov_b32 s2, exec_lo
	s_wait_dscnt 0x0
	s_barrier_signal -1
	s_barrier_wait -1
	v_cmpx_gt_u32_e32 32, v0
	s_cbranch_execz .LBB18_13
; %bb.12:
	v_and_b32_e32 v2, 7, v1
	s_delay_alu instid0(VALU_DEP_1) | instskip(SKIP_1) | instid1(VALU_DEP_1)
	v_cmp_ne_u32_e32 vcc_lo, 7, v2
	v_add_co_ci_u32_e64 v4, null, 0, v1, vcc_lo
	v_lshlrev_b32_e32 v4, 2, v4
	v_cmp_gt_u32_e32 vcc_lo, 6, v2
	v_lshlrev_b32_e32 v3, 2, v2
	v_cndmask_b32_e64 v2, 0, 2, vcc_lo
	s_delay_alu instid0(VALU_DEP_1)
	v_add_lshl_u32 v2, v2, v1, 2
	v_lshlrev_b32_e32 v1, 2, v1
	ds_load_b32 v3, v3
	v_or_b32_e32 v1, 16, v1
	s_wait_dscnt 0x0
	ds_bpermute_b32 v4, v4, v3
	s_wait_dscnt 0x0
	v_add_f32_e32 v3, v3, v4
	ds_bpermute_b32 v2, v2, v3
	s_wait_dscnt 0x0
	v_add_f32_e32 v2, v3, v2
	;; [unrolled: 3-line block ×3, first 2 shown]
.LBB18_13:
	s_or_b32 exec_lo, exec_lo, s2
	s_branch .LBB18_36
.LBB18_14:
                                        ; implicit-def: $vgpr2
	s_cbranch_execz .LBB18_36
; %bb.15:
	v_mov_b32_e32 v2, 0
	s_sub_co_i32 s9, s10, s5
	s_mov_b32 s5, exec_lo
	s_delay_alu instid0(VALU_DEP_1)
	v_dual_mov_b32 v1, v2 :: v_dual_mov_b32 v4, v2
	v_mov_b32_e32 v3, v2
	v_cmpx_gt_u32_e64 s9, v0
	s_cbranch_execz .LBB18_19
; %bb.16:
	v_add_nc_u32_e32 v1, s7, v0
	s_movk_i32 s6, 0x2710
	s_brev_b32 s4, 12
	s_delay_alu instid0(VALU_DEP_1) | instskip(NEXT) | instid1(VALU_DEP_1)
	v_lshlrev_b32_e32 v3, 12, v1
	v_add3_u32 v1, v1, v3, 0x7ed55d16
	s_delay_alu instid0(VALU_DEP_1) | instskip(NEXT) | instid1(VALU_DEP_1)
	v_lshrrev_b32_e32 v3, 19, v1
	v_xor3_b32 v1, v1, v3, 0xc761c23c
	s_delay_alu instid0(VALU_DEP_1) | instskip(NEXT) | instid1(VALU_DEP_1)
	v_lshl_add_u32 v1, v1, 5, v1
	v_add_nc_u32_e32 v3, 0xe9f8cc1d, v1
	v_lshl_add_u32 v1, v1, 9, 0xaccf6200
	s_delay_alu instid0(VALU_DEP_1) | instskip(NEXT) | instid1(VALU_DEP_1)
	v_xor_b32_e32 v1, v3, v1
	v_lshlrev_b32_e32 v3, 3, v1
	s_delay_alu instid0(VALU_DEP_1) | instskip(NEXT) | instid1(VALU_DEP_1)
	v_add3_u32 v1, v1, v3, 0xfd7046c5
	v_lshrrev_b32_e32 v3, 16, v1
	s_delay_alu instid0(VALU_DEP_1) | instskip(NEXT) | instid1(VALU_DEP_1)
	v_xor3_b32 v1, v1, v3, 0xb55a4f09
	v_mul_hi_u32 v3, v1, 3
	s_delay_alu instid0(VALU_DEP_1) | instskip(NEXT) | instid1(VALU_DEP_1)
	v_sub_nc_u32_e32 v4, v1, v3
	v_lshrrev_b32_e32 v4, 1, v4
	s_delay_alu instid0(VALU_DEP_1) | instskip(NEXT) | instid1(VALU_DEP_1)
	v_add_nc_u32_e32 v3, v4, v3
	v_lshrrev_b32_e32 v3, 30, v3
	s_delay_alu instid0(VALU_DEP_1) | instskip(NEXT) | instid1(VALU_DEP_1)
	v_mul_lo_u32 v3, 0x7fffffff, v3
	v_sub_nc_u32_e32 v1, v1, v3
	s_delay_alu instid0(VALU_DEP_1)
	v_max_u32_e32 v1, 1, v1
.LBB18_17:                              ; =>This Inner Loop Header: Depth=1
	s_delay_alu instid0(VALU_DEP_1) | instskip(SKIP_1) | instid1(VALU_DEP_2)
	v_mul_hi_u32 v3, 0xbc8f1391, v1
	s_add_co_i32 s6, s6, -2
	v_add_f32_e32 v8, 1.0, v2
	s_cmp_lg_u32 s6, 0
	s_delay_alu instid0(VALU_DEP_2) | instskip(NEXT) | instid1(VALU_DEP_1)
	v_lshrrev_b32_e32 v3, 15, v3
	v_mul_u32_u24_e32 v4, 0xadc8, v3
	s_delay_alu instid0(VALU_DEP_1) | instskip(SKIP_1) | instid1(VALU_DEP_2)
	v_sub_nc_u32_e32 v1, v1, v4
	v_mul_u32_u24_e32 v3, 0xd47, v3
	v_mul_lo_u32 v1, 0xbc8f, v1
	s_delay_alu instid0(VALU_DEP_2) | instskip(SKIP_1) | instid1(VALU_DEP_3)
	v_xor_b32_e32 v4, 0x7fffffff, v3
	v_sub_nc_u32_e32 v5, 0, v3
	v_cmp_lt_u32_e32 vcc_lo, v1, v3
	s_delay_alu instid0(VALU_DEP_2) | instskip(NEXT) | instid1(VALU_DEP_1)
	v_cndmask_b32_e32 v3, v5, v4, vcc_lo
	v_add_nc_u32_e32 v1, v3, v1
	s_delay_alu instid0(VALU_DEP_1) | instskip(NEXT) | instid1(VALU_DEP_1)
	v_mul_hi_u32 v3, 0xbc8f1391, v1
	v_lshrrev_b32_e32 v3, 15, v3
	s_delay_alu instid0(VALU_DEP_1) | instskip(NEXT) | instid1(VALU_DEP_1)
	v_mul_u32_u24_e32 v4, 0xadc8, v3
	v_sub_nc_u32_e32 v4, v1, v4
	v_mul_u32_u24_e32 v3, 0xd47, v3
	s_delay_alu instid0(VALU_DEP_2) | instskip(NEXT) | instid1(VALU_DEP_2)
	v_mul_lo_u32 v4, 0xbc8f, v4
	v_xor_b32_e32 v5, 0x7fffffff, v3
	v_sub_nc_u32_e32 v6, 0, v3
	s_delay_alu instid0(VALU_DEP_3) | instskip(NEXT) | instid1(VALU_DEP_2)
	v_cmp_lt_u32_e32 vcc_lo, v4, v3
	v_cndmask_b32_e32 v3, v6, v5, vcc_lo
	s_delay_alu instid0(VALU_DEP_1) | instskip(NEXT) | instid1(VALU_DEP_1)
	v_dual_add_nc_u32 v3, v3, v4 :: v_dual_add_nc_u32 v1, -1, v1
	v_mul_hi_u32 v4, 0xbc8f1391, v3
	s_delay_alu instid0(VALU_DEP_1) | instskip(NEXT) | instid1(VALU_DEP_1)
	v_lshrrev_b32_e32 v4, 15, v4
	v_mul_u32_u24_e32 v5, 0xadc8, v4
	v_mul_u32_u24_e32 v4, 0xd47, v4
	s_delay_alu instid0(VALU_DEP_2) | instskip(NEXT) | instid1(VALU_DEP_2)
	v_sub_nc_u32_e32 v5, v3, v5
	v_xor_b32_e32 v6, 0x7fffffff, v4
	v_dual_sub_nc_u32 v7, 0, v4 :: v_dual_add_nc_u32 v3, -1, v3
	s_delay_alu instid0(VALU_DEP_3) | instskip(NEXT) | instid1(VALU_DEP_1)
	v_mul_lo_u32 v5, 0xbc8f, v5
	v_cmp_lt_u32_e32 vcc_lo, v5, v4
	s_delay_alu instid0(VALU_DEP_3) | instskip(NEXT) | instid1(VALU_DEP_1)
	v_cndmask_b32_e32 v4, v7, v6, vcc_lo
	v_add_nc_u32_e32 v6, v4, v5
	s_delay_alu instid0(VALU_DEP_1) | instskip(NEXT) | instid1(VALU_DEP_1)
	v_mul_hi_u32 v4, 0xbc8f1391, v6
	v_lshrrev_b32_e32 v4, 15, v4
	s_delay_alu instid0(VALU_DEP_1) | instskip(NEXT) | instid1(VALU_DEP_1)
	v_mul_u32_u24_e32 v5, 0xadc8, v4
	v_sub_nc_u32_e32 v5, v6, v5
	s_delay_alu instid0(VALU_DEP_1) | instskip(SKIP_2) | instid1(VALU_DEP_2)
	v_mul_lo_u32 v7, 0xbc8f, v5
	v_mul_u32_u24_e32 v5, 0xd47, v4
	v_cvt_f32_u32_e32 v4, v1
	v_xor_b32_e32 v1, 0x7fffffff, v5
	v_sub_nc_u32_e32 v9, 0, v5
	v_cmp_lt_u32_e32 vcc_lo, v7, v5
	v_cvt_f32_u32_e32 v5, v3
	s_delay_alu instid0(VALU_DEP_3) | instskip(NEXT) | instid1(VALU_DEP_2)
	v_dual_add_nc_u32 v3, -1, v6 :: v_dual_cndmask_b32 v1, v9, v1, vcc_lo
	v_pk_fma_f32 v[4:5], v[4:5], s[4:5], 0 op_sel_hi:[1,0,0]
	s_delay_alu instid0(VALU_DEP_2) | instskip(NEXT) | instid1(VALU_DEP_3)
	v_cvt_f32_u32_e32 v6, v3
	v_add_nc_u32_e32 v1, v1, v7
	s_delay_alu instid0(VALU_DEP_3) | instskip(NEXT) | instid1(VALU_DEP_1)
	v_pk_mul_f32 v[4:5], v[4:5], v[4:5]
	v_add_f32_e32 v3, v4, v5
	s_delay_alu instid0(VALU_DEP_3) | instskip(NEXT) | instid1(VALU_DEP_1)
	v_add_nc_u32_e32 v7, -1, v1
	v_cvt_f32_u32_e32 v7, v7
	s_delay_alu instid0(VALU_DEP_1) | instskip(NEXT) | instid1(VALU_DEP_1)
	v_pk_fma_f32 v[4:5], v[6:7], s[4:5], 0 op_sel_hi:[1,0,0]
	v_pk_mul_f32 v[4:5], v[4:5], v[4:5]
	s_delay_alu instid0(VALU_DEP_1) | instskip(SKIP_2) | instid1(VALU_DEP_3)
	v_add_f32_e32 v4, v4, v5
	v_mul_f32_e32 v6, 0x4f800000, v3
	v_cmp_gt_f32_e32 vcc_lo, 0xf800000, v3
	v_cmp_gt_f32_e64 s2, 0xf800000, v4
	s_delay_alu instid0(VALU_DEP_3) | instskip(NEXT) | instid1(VALU_DEP_1)
	v_dual_cndmask_b32 v3, v3, v6 :: v_dual_mul_f32 v6, 0x4f800000, v4
	v_sqrt_f32_e32 v5, v3
	s_delay_alu instid0(VALU_DEP_1) | instskip(NEXT) | instid1(VALU_DEP_1)
	v_cndmask_b32_e64 v4, v4, v6, s2
	v_sqrt_f32_e32 v10, v4
	s_delay_alu instid0(TRANS32_DEP_2) | instskip(NEXT) | instid1(VALU_DEP_1)
	v_dual_add_nc_u32 v7, -1, v5 :: v_dual_add_nc_u32 v6, 1, v5
	v_fma_f32 v9, -v7, v5, v3
	s_delay_alu instid0(VALU_DEP_1) | instskip(NEXT) | instid1(VALU_DEP_1)
	v_cmp_ge_f32_e64 s3, 0, v9
	v_dual_fma_f32 v11, -v6, v5, v3 :: v_dual_cndmask_b32 v5, v5, v7, s3
	s_delay_alu instid0(VALU_DEP_1) | instskip(NEXT) | instid1(TRANS32_DEP_1)
	v_cmp_lt_f32_e64 s3, 0, v11
	v_add_nc_u32_e32 v7, -1, v10
	s_delay_alu instid0(VALU_DEP_2) | instskip(NEXT) | instid1(VALU_DEP_2)
	v_cndmask_b32_e64 v5, v5, v6, s3
	v_dual_add_nc_u32 v6, 1, v10 :: v_dual_fma_f32 v9, -v7, v10, v4
	s_delay_alu instid0(VALU_DEP_1) | instskip(NEXT) | instid1(VALU_DEP_2)
	v_fma_f32 v12, -v6, v10, v4
	v_cmp_ge_f32_e64 s3, 0, v9
	s_delay_alu instid0(VALU_DEP_1) | instskip(SKIP_1) | instid1(VALU_DEP_4)
	v_cndmask_b32_e64 v7, v10, v7, s3
	v_mul_f32_e32 v11, 0x37800000, v5
	v_cmp_lt_f32_e64 s3, 0, v12
	s_delay_alu instid0(VALU_DEP_1) | instskip(SKIP_1) | instid1(VALU_DEP_2)
	v_dual_cndmask_b32 v5, v5, v11, vcc_lo :: v_dual_cndmask_b32 v6, v7, v6, s3
	v_cmp_class_f32_e64 vcc_lo, v3, 0x260
	v_cndmask_b32_e32 v3, v5, v3, vcc_lo
	s_delay_alu instid0(VALU_DEP_3) | instskip(NEXT) | instid1(VALU_DEP_2)
	v_mul_f32_e32 v5, 0x37800000, v6
	v_cmp_nge_f32_e32 vcc_lo, 1.0, v3
	s_delay_alu instid0(VALU_DEP_2) | instskip(SKIP_1) | instid1(VALU_DEP_1)
	v_dual_cndmask_b32 v2, v8, v2, vcc_lo :: v_dual_cndmask_b32 v3, v6, v5, s2
	v_cmp_class_f32_e64 vcc_lo, v4, 0x260
	v_dual_add_f32 v5, 1.0, v2 :: v_dual_cndmask_b32 v3, v3, v4, vcc_lo
	s_delay_alu instid0(VALU_DEP_1) | instskip(NEXT) | instid1(VALU_DEP_2)
	v_cmp_nge_f32_e32 vcc_lo, 1.0, v3
	v_cndmask_b32_e32 v2, v5, v2, vcc_lo
	s_cbranch_scc1 .LBB18_17
; %bb.18:
	s_delay_alu instid0(VALU_DEP_1) | instskip(NEXT) | instid1(VALU_DEP_1)
	v_mul_f32_e32 v2, 4.0, v2
	v_div_scale_f32 v1, null, 0x461c4000, 0x461c4000, v2
	s_delay_alu instid0(VALU_DEP_1) | instskip(SKIP_1) | instid1(TRANS32_DEP_1)
	v_rcp_f32_e32 v3, v1
	v_nop
	v_fma_f32 v4, -v1, v3, 1.0
	s_delay_alu instid0(VALU_DEP_1) | instskip(SKIP_1) | instid1(VALU_DEP_1)
	v_fmac_f32_e32 v3, v4, v3
	v_div_scale_f32 v5, vcc_lo, v2, 0x461c4000, v2
	v_mul_f32_e32 v4, v5, v3
	s_delay_alu instid0(VALU_DEP_1) | instskip(NEXT) | instid1(VALU_DEP_1)
	v_fma_f32 v6, -v1, v4, v5
	v_fmac_f32_e32 v4, v6, v3
	s_delay_alu instid0(VALU_DEP_1) | instskip(NEXT) | instid1(VALU_DEP_1)
	v_dual_fma_f32 v5, -v1, v4, v5 :: v_dual_mov_b32 v1, 0
	v_div_fmas_f32 v3, v5, v3, v4
	s_delay_alu instid0(VALU_DEP_2) | instskip(NEXT) | instid1(VALU_DEP_2)
	v_mov_b32_e32 v4, v1
	v_div_fixup_f32 v2, v3, 0x461c4000, v2
	v_mov_b32_e32 v3, v1
.LBB18_19:
	s_or_b32 exec_lo, exec_lo, s5
	v_or_b32_e32 v5, 0x100, v0
	s_delay_alu instid0(VALU_DEP_1)
	v_cmp_gt_u32_e64 s2, s9, v5
	s_and_saveexec_b32 s5, s2
	s_cbranch_execz .LBB18_23
; %bb.20:
	v_add_nc_u32_e32 v1, s7, v5
	s_movk_i32 s8, 0x2710
	s_brev_b32 s6, 12
	s_delay_alu instid0(VALU_DEP_1) | instskip(NEXT) | instid1(VALU_DEP_1)
	v_lshlrev_b32_e32 v5, 12, v1
	v_add3_u32 v1, v1, v5, 0x7ed55d16
	s_delay_alu instid0(VALU_DEP_1) | instskip(NEXT) | instid1(VALU_DEP_1)
	v_lshrrev_b32_e32 v5, 19, v1
	v_xor3_b32 v1, v1, v5, 0xc761c23c
	s_delay_alu instid0(VALU_DEP_1) | instskip(NEXT) | instid1(VALU_DEP_1)
	v_lshl_add_u32 v1, v1, 5, v1
	v_add_nc_u32_e32 v5, 0xe9f8cc1d, v1
	v_lshl_add_u32 v1, v1, 9, 0xaccf6200
	s_delay_alu instid0(VALU_DEP_1) | instskip(NEXT) | instid1(VALU_DEP_1)
	v_xor_b32_e32 v1, v5, v1
	v_lshlrev_b32_e32 v5, 3, v1
	s_delay_alu instid0(VALU_DEP_1) | instskip(NEXT) | instid1(VALU_DEP_1)
	v_add3_u32 v1, v1, v5, 0xfd7046c5
	v_lshrrev_b32_e32 v5, 16, v1
	s_delay_alu instid0(VALU_DEP_1) | instskip(NEXT) | instid1(VALU_DEP_1)
	v_xor3_b32 v1, v1, v5, 0xb55a4f09
	v_mul_hi_u32 v5, v1, 3
	s_delay_alu instid0(VALU_DEP_1) | instskip(NEXT) | instid1(VALU_DEP_1)
	v_sub_nc_u32_e32 v6, v1, v5
	v_lshrrev_b32_e32 v6, 1, v6
	s_delay_alu instid0(VALU_DEP_1) | instskip(NEXT) | instid1(VALU_DEP_1)
	v_add_nc_u32_e32 v5, v6, v5
	v_lshrrev_b32_e32 v5, 30, v5
	s_delay_alu instid0(VALU_DEP_1) | instskip(NEXT) | instid1(VALU_DEP_1)
	v_mul_lo_u32 v5, 0x7fffffff, v5
	v_sub_nc_u32_e32 v1, v1, v5
	s_delay_alu instid0(VALU_DEP_1)
	v_max_u32_e32 v5, 1, v1
	v_mov_b32_e32 v1, 0
.LBB18_21:                              ; =>This Inner Loop Header: Depth=1
	s_delay_alu instid0(VALU_DEP_2) | instskip(SKIP_1) | instid1(SALU_CYCLE_1)
	v_mul_hi_u32 v6, 0xbc8f1391, v5
	s_add_co_i32 s8, s8, -2
	s_cmp_lg_u32 s8, 0
	s_delay_alu instid0(VALU_DEP_1) | instskip(NEXT) | instid1(VALU_DEP_1)
	v_lshrrev_b32_e32 v6, 15, v6
	v_mul_u32_u24_e32 v7, 0xadc8, v6
	s_delay_alu instid0(VALU_DEP_1) | instskip(SKIP_1) | instid1(VALU_DEP_2)
	v_sub_nc_u32_e32 v5, v5, v7
	v_mul_u32_u24_e32 v6, 0xd47, v6
	v_mul_lo_u32 v5, 0xbc8f, v5
	s_delay_alu instid0(VALU_DEP_2) | instskip(SKIP_1) | instid1(VALU_DEP_3)
	v_xor_b32_e32 v7, 0x7fffffff, v6
	v_sub_nc_u32_e32 v8, 0, v6
	v_cmp_lt_u32_e32 vcc_lo, v5, v6
	s_delay_alu instid0(VALU_DEP_2) | instskip(NEXT) | instid1(VALU_DEP_1)
	v_cndmask_b32_e32 v6, v8, v7, vcc_lo
	v_add_nc_u32_e32 v5, v6, v5
	s_delay_alu instid0(VALU_DEP_1) | instskip(NEXT) | instid1(VALU_DEP_1)
	v_mul_hi_u32 v6, 0xbc8f1391, v5
	v_lshrrev_b32_e32 v6, 15, v6
	s_delay_alu instid0(VALU_DEP_1) | instskip(SKIP_1) | instid1(VALU_DEP_2)
	v_mul_u32_u24_e32 v7, 0xadc8, v6
	v_mul_u32_u24_e32 v6, 0xd47, v6
	v_sub_nc_u32_e32 v7, v5, v7
	s_delay_alu instid0(VALU_DEP_2) | instskip(SKIP_1) | instid1(VALU_DEP_3)
	v_xor_b32_e32 v8, 0x7fffffff, v6
	v_add_nc_u32_e32 v5, -1, v5
	v_mul_lo_u32 v7, 0xbc8f, v7
	v_sub_nc_u32_e32 v9, 0, v6
	s_delay_alu instid0(VALU_DEP_2) | instskip(NEXT) | instid1(VALU_DEP_2)
	v_cmp_lt_u32_e32 vcc_lo, v7, v6
	v_cndmask_b32_e32 v6, v9, v8, vcc_lo
	s_delay_alu instid0(VALU_DEP_1) | instskip(NEXT) | instid1(VALU_DEP_1)
	v_add_nc_u32_e32 v7, v6, v7
	v_mul_hi_u32 v6, 0xbc8f1391, v7
	s_delay_alu instid0(VALU_DEP_1) | instskip(NEXT) | instid1(VALU_DEP_1)
	v_lshrrev_b32_e32 v6, 15, v6
	v_mul_u32_u24_e32 v8, 0xadc8, v6
	v_mul_u32_u24_e32 v6, 0xd47, v6
	s_delay_alu instid0(VALU_DEP_2) | instskip(NEXT) | instid1(VALU_DEP_2)
	v_sub_nc_u32_e32 v8, v7, v8
	v_xor_b32_e32 v9, 0x7fffffff, v6
	s_delay_alu instid0(VALU_DEP_2) | instskip(SKIP_1) | instid1(VALU_DEP_2)
	v_mul_lo_u32 v8, 0xbc8f, v8
	v_sub_nc_u32_e32 v10, 0, v6
	v_cmp_lt_u32_e32 vcc_lo, v8, v6
	s_delay_alu instid0(VALU_DEP_2) | instskip(NEXT) | instid1(VALU_DEP_1)
	v_cndmask_b32_e32 v6, v10, v9, vcc_lo
	v_dual_add_f32 v10, 1.0, v1 :: v_dual_add_nc_u32 v8, v6, v8
	s_delay_alu instid0(VALU_DEP_1) | instskip(NEXT) | instid1(VALU_DEP_1)
	v_mul_hi_u32 v6, 0xbc8f1391, v8
	v_lshrrev_b32_e32 v6, 15, v6
	s_delay_alu instid0(VALU_DEP_1) | instskip(SKIP_2) | instid1(VALU_DEP_3)
	v_mul_u32_u24_e32 v9, 0xadc8, v6
	v_mul_u32_u24_e32 v11, 0xd47, v6
	v_cvt_f32_u32_e32 v6, v5
	v_sub_nc_u32_e32 v9, v8, v9
	s_delay_alu instid0(VALU_DEP_3) | instskip(SKIP_1) | instid1(VALU_DEP_3)
	v_xor_b32_e32 v5, 0x7fffffff, v11
	v_dual_sub_nc_u32 v12, 0, v11 :: v_dual_add_nc_u32 v8, -1, v8
	v_mul_lo_u32 v9, 0xbc8f, v9
	s_delay_alu instid0(VALU_DEP_2) | instskip(NEXT) | instid1(VALU_DEP_2)
	v_cvt_f32_u32_e32 v8, v8
	v_cmp_lt_u32_e32 vcc_lo, v9, v11
	s_delay_alu instid0(VALU_DEP_4) | instskip(NEXT) | instid1(VALU_DEP_1)
	v_dual_add_nc_u32 v7, -1, v7 :: v_dual_cndmask_b32 v5, v12, v5, vcc_lo
	v_cvt_f32_u32_e32 v7, v7
	s_delay_alu instid0(VALU_DEP_2) | instskip(NEXT) | instid1(VALU_DEP_2)
	v_add_nc_u32_e32 v5, v5, v9
	v_pk_fma_f32 v[6:7], v[6:7], s[6:7], 0 op_sel_hi:[1,0,0]
	s_delay_alu instid0(VALU_DEP_1) | instskip(NEXT) | instid1(VALU_DEP_1)
	v_pk_mul_f32 v[6:7], v[6:7], v[6:7]
	v_dual_add_nc_u32 v9, -1, v5 :: v_dual_add_f32 v11, v6, v7
	s_delay_alu instid0(VALU_DEP_1) | instskip(NEXT) | instid1(VALU_DEP_2)
	v_cvt_f32_u32_e32 v9, v9
	v_cmp_gt_f32_e32 vcc_lo, 0xf800000, v11
	s_delay_alu instid0(VALU_DEP_2) | instskip(NEXT) | instid1(VALU_DEP_1)
	v_pk_fma_f32 v[6:7], v[8:9], s[6:7], 0 op_sel_hi:[1,0,0]
	v_pk_mul_f32 v[6:7], v[6:7], v[6:7]
	s_delay_alu instid0(VALU_DEP_1) | instskip(NEXT) | instid1(VALU_DEP_1)
	v_add_f32_e32 v6, v6, v7
	v_dual_mul_f32 v8, 0x4f800000, v11 :: v_dual_mul_f32 v9, 0x4f800000, v6
	s_delay_alu instid0(VALU_DEP_1) | instskip(SKIP_1) | instid1(VALU_DEP_2)
	v_cndmask_b32_e32 v8, v11, v8, vcc_lo
	v_cmp_gt_f32_e64 s3, 0xf800000, v6
	v_sqrt_f32_e32 v7, v8
	v_nop
	s_delay_alu instid0(TRANS32_DEP_1) | instskip(NEXT) | instid1(VALU_DEP_1)
	v_dual_add_nc_u32 v11, -1, v7 :: v_dual_cndmask_b32 v6, v6, v9, s3
	v_dual_add_nc_u32 v9, 1, v7 :: v_dual_fma_f32 v12, -v11, v7, v8
	s_delay_alu instid0(VALU_DEP_2) | instskip(NEXT) | instid1(VALU_DEP_1)
	v_sqrt_f32_e32 v13, v6
	v_fma_f32 v14, -v9, v7, v8
	s_delay_alu instid0(VALU_DEP_2)
	v_cmp_ge_f32_e64 s4, 0, v12
	s_delay_alu instid0(TRANS32_DEP_1) | instid1(VALU_DEP_1)
	v_dual_cndmask_b32 v7, v7, v11, s4 :: v_dual_add_nc_u32 v11, -1, v13
	s_delay_alu instid0(VALU_DEP_3) | instskip(NEXT) | instid1(VALU_DEP_1)
	v_cmp_lt_f32_e64 s4, 0, v14
	v_cndmask_b32_e64 v7, v7, v9, s4
	s_delay_alu instid0(VALU_DEP_3) | instskip(NEXT) | instid1(VALU_DEP_1)
	v_dual_add_nc_u32 v9, 1, v13 :: v_dual_fma_f32 v12, -v11, v13, v6
	v_fma_f32 v15, -v9, v13, v6
	s_delay_alu instid0(VALU_DEP_2) | instskip(NEXT) | instid1(VALU_DEP_1)
	v_cmp_ge_f32_e64 s4, 0, v12
	v_cndmask_b32_e64 v11, v13, v11, s4
	v_mul_f32_e32 v14, 0x37800000, v7
	s_delay_alu instid0(VALU_DEP_4) | instskip(NEXT) | instid1(VALU_DEP_1)
	v_cmp_lt_f32_e64 s4, 0, v15
	v_cndmask_b32_e64 v9, v11, v9, s4
	s_delay_alu instid0(VALU_DEP_3) | instskip(SKIP_1) | instid1(VALU_DEP_2)
	v_cndmask_b32_e32 v7, v7, v14, vcc_lo
	v_cmp_class_f32_e64 vcc_lo, v8, 0x260
	v_dual_cndmask_b32 v7, v7, v8 :: v_dual_mul_f32 v8, 0x37800000, v9
	s_delay_alu instid0(VALU_DEP_1) | instskip(NEXT) | instid1(VALU_DEP_2)
	v_cmp_nge_f32_e32 vcc_lo, 1.0, v7
	v_dual_cndmask_b32 v7, v9, v8, s3 :: v_dual_cndmask_b32 v1, v10, v1, vcc_lo
	v_cmp_class_f32_e64 vcc_lo, v6, 0x260
	s_delay_alu instid0(VALU_DEP_1) | instskip(NEXT) | instid1(VALU_DEP_1)
	v_dual_add_f32 v8, 1.0, v1 :: v_dual_cndmask_b32 v6, v7, v6, vcc_lo
	v_cmp_nge_f32_e32 vcc_lo, 1.0, v6
	s_delay_alu instid0(VALU_DEP_2)
	v_cndmask_b32_e32 v1, v8, v1, vcc_lo
	s_cbranch_scc1 .LBB18_21
; %bb.22:
	s_delay_alu instid0(VALU_DEP_1) | instskip(NEXT) | instid1(VALU_DEP_1)
	v_mul_f32_e32 v1, 4.0, v1
	v_div_scale_f32 v5, null, 0x461c4000, 0x461c4000, v1
	s_delay_alu instid0(VALU_DEP_1) | instskip(SKIP_1) | instid1(TRANS32_DEP_1)
	v_rcp_f32_e32 v6, v5
	v_nop
	v_fma_f32 v7, -v5, v6, 1.0
	s_delay_alu instid0(VALU_DEP_1) | instskip(SKIP_1) | instid1(VALU_DEP_1)
	v_fmac_f32_e32 v6, v7, v6
	v_div_scale_f32 v7, vcc_lo, v1, 0x461c4000, v1
	v_mul_f32_e32 v8, v7, v6
	s_delay_alu instid0(VALU_DEP_1) | instskip(NEXT) | instid1(VALU_DEP_1)
	v_fma_f32 v9, -v5, v8, v7
	v_fmac_f32_e32 v8, v9, v6
	s_delay_alu instid0(VALU_DEP_1) | instskip(NEXT) | instid1(VALU_DEP_1)
	v_fma_f32 v5, -v5, v8, v7
	v_div_fmas_f32 v5, v5, v6, v8
	s_delay_alu instid0(VALU_DEP_1)
	v_div_fixup_f32 v1, v5, 0x461c4000, v1
.LBB18_23:
	s_or_b32 exec_lo, exec_lo, s5
	v_or_b32_e32 v5, 0x200, v0
	s_delay_alu instid0(VALU_DEP_1)
	v_cmp_gt_u32_e64 s3, s9, v5
	s_and_saveexec_b32 s8, s3
	s_cbranch_execz .LBB18_27
; %bb.24:
	v_add_nc_u32_e32 v4, s7, v5
	s_movk_i32 s20, 0x2710
	s_brev_b32 s6, 12
	s_delay_alu instid0(VALU_DEP_1) | instskip(NEXT) | instid1(VALU_DEP_1)
	v_lshlrev_b32_e32 v5, 12, v4
	v_add3_u32 v4, v4, v5, 0x7ed55d16
	s_delay_alu instid0(VALU_DEP_1) | instskip(NEXT) | instid1(VALU_DEP_1)
	v_lshrrev_b32_e32 v5, 19, v4
	v_xor3_b32 v4, v4, v5, 0xc761c23c
	s_delay_alu instid0(VALU_DEP_1) | instskip(NEXT) | instid1(VALU_DEP_1)
	v_lshl_add_u32 v4, v4, 5, v4
	v_add_nc_u32_e32 v5, 0xe9f8cc1d, v4
	v_lshl_add_u32 v4, v4, 9, 0xaccf6200
	s_delay_alu instid0(VALU_DEP_1) | instskip(NEXT) | instid1(VALU_DEP_1)
	v_xor_b32_e32 v4, v5, v4
	v_lshlrev_b32_e32 v5, 3, v4
	s_delay_alu instid0(VALU_DEP_1) | instskip(NEXT) | instid1(VALU_DEP_1)
	v_add3_u32 v4, v4, v5, 0xfd7046c5
	v_lshrrev_b32_e32 v5, 16, v4
	s_delay_alu instid0(VALU_DEP_1) | instskip(NEXT) | instid1(VALU_DEP_1)
	v_xor3_b32 v4, v4, v5, 0xb55a4f09
	v_mul_hi_u32 v5, v4, 3
	s_delay_alu instid0(VALU_DEP_1) | instskip(NEXT) | instid1(VALU_DEP_1)
	v_sub_nc_u32_e32 v6, v4, v5
	v_lshrrev_b32_e32 v6, 1, v6
	s_delay_alu instid0(VALU_DEP_1) | instskip(NEXT) | instid1(VALU_DEP_1)
	v_add_nc_u32_e32 v5, v6, v5
	v_lshrrev_b32_e32 v5, 30, v5
	s_delay_alu instid0(VALU_DEP_1) | instskip(NEXT) | instid1(VALU_DEP_1)
	v_mul_lo_u32 v5, 0x7fffffff, v5
	v_sub_nc_u32_e32 v4, v4, v5
	s_delay_alu instid0(VALU_DEP_1)
	v_max_u32_e32 v5, 1, v4
	v_mov_b32_e32 v4, 0
.LBB18_25:                              ; =>This Inner Loop Header: Depth=1
	s_delay_alu instid0(VALU_DEP_2) | instskip(SKIP_1) | instid1(SALU_CYCLE_1)
	v_mul_hi_u32 v6, 0xbc8f1391, v5
	s_add_co_i32 s20, s20, -2
	s_cmp_lg_u32 s20, 0
	s_delay_alu instid0(VALU_DEP_1) | instskip(NEXT) | instid1(VALU_DEP_1)
	v_lshrrev_b32_e32 v6, 15, v6
	v_mul_u32_u24_e32 v7, 0xadc8, v6
	s_delay_alu instid0(VALU_DEP_1) | instskip(SKIP_1) | instid1(VALU_DEP_2)
	v_sub_nc_u32_e32 v5, v5, v7
	v_mul_u32_u24_e32 v6, 0xd47, v6
	v_mul_lo_u32 v5, 0xbc8f, v5
	s_delay_alu instid0(VALU_DEP_2) | instskip(SKIP_1) | instid1(VALU_DEP_3)
	v_xor_b32_e32 v7, 0x7fffffff, v6
	v_sub_nc_u32_e32 v8, 0, v6
	v_cmp_lt_u32_e32 vcc_lo, v5, v6
	s_delay_alu instid0(VALU_DEP_2) | instskip(NEXT) | instid1(VALU_DEP_1)
	v_cndmask_b32_e32 v6, v8, v7, vcc_lo
	v_add_nc_u32_e32 v5, v6, v5
	s_delay_alu instid0(VALU_DEP_1) | instskip(NEXT) | instid1(VALU_DEP_1)
	v_mul_hi_u32 v6, 0xbc8f1391, v5
	v_lshrrev_b32_e32 v6, 15, v6
	s_delay_alu instid0(VALU_DEP_1) | instskip(SKIP_1) | instid1(VALU_DEP_2)
	v_mul_u32_u24_e32 v7, 0xadc8, v6
	v_mul_u32_u24_e32 v6, 0xd47, v6
	v_sub_nc_u32_e32 v7, v5, v7
	s_delay_alu instid0(VALU_DEP_2) | instskip(SKIP_1) | instid1(VALU_DEP_3)
	v_xor_b32_e32 v8, 0x7fffffff, v6
	v_add_nc_u32_e32 v5, -1, v5
	v_mul_lo_u32 v7, 0xbc8f, v7
	v_sub_nc_u32_e32 v9, 0, v6
	s_delay_alu instid0(VALU_DEP_2) | instskip(NEXT) | instid1(VALU_DEP_2)
	v_cmp_lt_u32_e32 vcc_lo, v7, v6
	v_cndmask_b32_e32 v6, v9, v8, vcc_lo
	s_delay_alu instid0(VALU_DEP_1) | instskip(NEXT) | instid1(VALU_DEP_1)
	v_add_nc_u32_e32 v7, v6, v7
	v_mul_hi_u32 v6, 0xbc8f1391, v7
	s_delay_alu instid0(VALU_DEP_1) | instskip(NEXT) | instid1(VALU_DEP_1)
	v_lshrrev_b32_e32 v6, 15, v6
	v_mul_u32_u24_e32 v8, 0xadc8, v6
	v_mul_u32_u24_e32 v6, 0xd47, v6
	s_delay_alu instid0(VALU_DEP_2) | instskip(NEXT) | instid1(VALU_DEP_2)
	v_sub_nc_u32_e32 v8, v7, v8
	v_xor_b32_e32 v9, 0x7fffffff, v6
	s_delay_alu instid0(VALU_DEP_2) | instskip(SKIP_1) | instid1(VALU_DEP_2)
	v_mul_lo_u32 v8, 0xbc8f, v8
	v_sub_nc_u32_e32 v10, 0, v6
	v_cmp_lt_u32_e32 vcc_lo, v8, v6
	s_delay_alu instid0(VALU_DEP_2) | instskip(NEXT) | instid1(VALU_DEP_1)
	v_dual_cndmask_b32 v6, v10, v9, vcc_lo :: v_dual_add_f32 v10, 1.0, v4
	v_add_nc_u32_e32 v8, v6, v8
	s_delay_alu instid0(VALU_DEP_1) | instskip(NEXT) | instid1(VALU_DEP_1)
	v_mul_hi_u32 v6, 0xbc8f1391, v8
	v_lshrrev_b32_e32 v6, 15, v6
	s_delay_alu instid0(VALU_DEP_1) | instskip(SKIP_2) | instid1(VALU_DEP_3)
	v_mul_u32_u24_e32 v9, 0xadc8, v6
	v_mul_u32_u24_e32 v11, 0xd47, v6
	v_cvt_f32_u32_e32 v6, v5
	v_sub_nc_u32_e32 v9, v8, v9
	s_delay_alu instid0(VALU_DEP_3) | instskip(SKIP_1) | instid1(VALU_DEP_3)
	v_xor_b32_e32 v5, 0x7fffffff, v11
	v_dual_sub_nc_u32 v12, 0, v11 :: v_dual_add_nc_u32 v8, -1, v8
	v_mul_lo_u32 v9, 0xbc8f, v9
	s_delay_alu instid0(VALU_DEP_2) | instskip(NEXT) | instid1(VALU_DEP_2)
	v_cvt_f32_u32_e32 v8, v8
	v_cmp_lt_u32_e32 vcc_lo, v9, v11
	s_delay_alu instid0(VALU_DEP_4) | instskip(NEXT) | instid1(VALU_DEP_1)
	v_dual_add_nc_u32 v7, -1, v7 :: v_dual_cndmask_b32 v5, v12, v5, vcc_lo
	v_cvt_f32_u32_e32 v7, v7
	s_delay_alu instid0(VALU_DEP_2) | instskip(NEXT) | instid1(VALU_DEP_2)
	v_add_nc_u32_e32 v5, v5, v9
	v_pk_fma_f32 v[6:7], v[6:7], s[6:7], 0 op_sel_hi:[1,0,0]
	s_delay_alu instid0(VALU_DEP_1) | instskip(NEXT) | instid1(VALU_DEP_1)
	v_pk_mul_f32 v[6:7], v[6:7], v[6:7]
	v_dual_add_nc_u32 v9, -1, v5 :: v_dual_add_f32 v11, v6, v7
	s_delay_alu instid0(VALU_DEP_1) | instskip(NEXT) | instid1(VALU_DEP_2)
	v_cvt_f32_u32_e32 v9, v9
	v_cmp_gt_f32_e32 vcc_lo, 0xf800000, v11
	s_delay_alu instid0(VALU_DEP_2) | instskip(NEXT) | instid1(VALU_DEP_1)
	v_pk_fma_f32 v[6:7], v[8:9], s[6:7], 0 op_sel_hi:[1,0,0]
	v_pk_mul_f32 v[6:7], v[6:7], v[6:7]
	s_delay_alu instid0(VALU_DEP_1) | instskip(NEXT) | instid1(VALU_DEP_1)
	v_add_f32_e32 v6, v6, v7
	v_dual_mul_f32 v8, 0x4f800000, v11 :: v_dual_mul_f32 v9, 0x4f800000, v6
	s_delay_alu instid0(VALU_DEP_1) | instskip(SKIP_1) | instid1(VALU_DEP_2)
	v_cndmask_b32_e32 v8, v11, v8, vcc_lo
	v_cmp_gt_f32_e64 s4, 0xf800000, v6
	v_sqrt_f32_e32 v7, v8
	v_nop
	s_delay_alu instid0(TRANS32_DEP_1) | instskip(NEXT) | instid1(VALU_DEP_1)
	v_dual_add_nc_u32 v11, -1, v7 :: v_dual_cndmask_b32 v6, v6, v9, s4
	v_dual_add_nc_u32 v9, 1, v7 :: v_dual_fma_f32 v12, -v11, v7, v8
	s_delay_alu instid0(VALU_DEP_2) | instskip(NEXT) | instid1(VALU_DEP_1)
	v_sqrt_f32_e32 v13, v6
	v_fma_f32 v14, -v9, v7, v8
	s_delay_alu instid0(VALU_DEP_2)
	v_cmp_ge_f32_e64 s5, 0, v12
	s_delay_alu instid0(TRANS32_DEP_1) | instid1(VALU_DEP_1)
	v_dual_cndmask_b32 v7, v7, v11, s5 :: v_dual_add_nc_u32 v11, -1, v13
	s_delay_alu instid0(VALU_DEP_3) | instskip(NEXT) | instid1(VALU_DEP_1)
	v_cmp_lt_f32_e64 s5, 0, v14
	v_cndmask_b32_e64 v7, v7, v9, s5
	s_delay_alu instid0(VALU_DEP_3) | instskip(NEXT) | instid1(VALU_DEP_1)
	v_dual_add_nc_u32 v9, 1, v13 :: v_dual_fma_f32 v12, -v11, v13, v6
	v_fma_f32 v15, -v9, v13, v6
	s_delay_alu instid0(VALU_DEP_2) | instskip(NEXT) | instid1(VALU_DEP_1)
	v_cmp_ge_f32_e64 s5, 0, v12
	v_cndmask_b32_e64 v11, v13, v11, s5
	v_mul_f32_e32 v14, 0x37800000, v7
	s_delay_alu instid0(VALU_DEP_4) | instskip(NEXT) | instid1(VALU_DEP_1)
	v_cmp_lt_f32_e64 s5, 0, v15
	v_cndmask_b32_e64 v9, v11, v9, s5
	s_delay_alu instid0(VALU_DEP_3) | instskip(SKIP_1) | instid1(VALU_DEP_2)
	v_cndmask_b32_e32 v7, v7, v14, vcc_lo
	v_cmp_class_f32_e64 vcc_lo, v8, 0x260
	v_cndmask_b32_e32 v7, v7, v8, vcc_lo
	s_delay_alu instid0(VALU_DEP_1) | instskip(SKIP_3) | instid1(VALU_DEP_2)
	v_cmp_nge_f32_e32 vcc_lo, 1.0, v7
	v_cndmask_b32_e32 v4, v10, v4, vcc_lo
	v_mul_f32_e32 v8, 0x37800000, v9
	v_cmp_class_f32_e64 vcc_lo, v6, 0x260
	v_cndmask_b32_e64 v7, v9, v8, s4
	s_delay_alu instid0(VALU_DEP_1) | instskip(NEXT) | instid1(VALU_DEP_1)
	v_dual_add_f32 v8, 1.0, v4 :: v_dual_cndmask_b32 v6, v7, v6, vcc_lo
	v_cmp_nge_f32_e32 vcc_lo, 1.0, v6
	s_delay_alu instid0(VALU_DEP_2)
	v_cndmask_b32_e32 v4, v8, v4, vcc_lo
	s_cbranch_scc1 .LBB18_25
; %bb.26:
	s_delay_alu instid0(VALU_DEP_1) | instskip(NEXT) | instid1(VALU_DEP_1)
	v_mul_f32_e32 v4, 4.0, v4
	v_div_scale_f32 v5, null, 0x461c4000, 0x461c4000, v4
	s_delay_alu instid0(VALU_DEP_1) | instskip(SKIP_1) | instid1(TRANS32_DEP_1)
	v_rcp_f32_e32 v6, v5
	v_nop
	v_fma_f32 v7, -v5, v6, 1.0
	s_delay_alu instid0(VALU_DEP_1) | instskip(SKIP_1) | instid1(VALU_DEP_1)
	v_fmac_f32_e32 v6, v7, v6
	v_div_scale_f32 v7, vcc_lo, v4, 0x461c4000, v4
	v_mul_f32_e32 v8, v7, v6
	s_delay_alu instid0(VALU_DEP_1) | instskip(NEXT) | instid1(VALU_DEP_1)
	v_fma_f32 v9, -v5, v8, v7
	v_fmac_f32_e32 v8, v9, v6
	s_delay_alu instid0(VALU_DEP_1) | instskip(NEXT) | instid1(VALU_DEP_1)
	v_fma_f32 v5, -v5, v8, v7
	v_div_fmas_f32 v5, v5, v6, v8
	s_delay_alu instid0(VALU_DEP_1)
	v_div_fixup_f32 v4, v5, 0x461c4000, v4
.LBB18_27:
	s_or_b32 exec_lo, exec_lo, s8
	v_or_b32_e32 v5, 0x300, v0
	s_delay_alu instid0(VALU_DEP_1)
	v_cmp_gt_u32_e64 s4, s9, v5
	s_and_saveexec_b32 s20, s4
	s_cbranch_execz .LBB18_31
; %bb.28:
	v_add_nc_u32_e32 v3, s7, v5
	s_movk_i32 s7, 0x2710
	s_brev_b32 s8, 12
	s_delay_alu instid0(VALU_DEP_1) | instskip(NEXT) | instid1(VALU_DEP_1)
	v_lshlrev_b32_e32 v5, 12, v3
	v_add3_u32 v3, v3, v5, 0x7ed55d16
	s_delay_alu instid0(VALU_DEP_1) | instskip(NEXT) | instid1(VALU_DEP_1)
	v_lshrrev_b32_e32 v5, 19, v3
	v_xor3_b32 v3, v3, v5, 0xc761c23c
	s_delay_alu instid0(VALU_DEP_1) | instskip(NEXT) | instid1(VALU_DEP_1)
	v_lshl_add_u32 v3, v3, 5, v3
	v_add_nc_u32_e32 v5, 0xe9f8cc1d, v3
	v_lshl_add_u32 v3, v3, 9, 0xaccf6200
	s_delay_alu instid0(VALU_DEP_1) | instskip(NEXT) | instid1(VALU_DEP_1)
	v_xor_b32_e32 v3, v5, v3
	v_lshlrev_b32_e32 v5, 3, v3
	s_delay_alu instid0(VALU_DEP_1) | instskip(NEXT) | instid1(VALU_DEP_1)
	v_add3_u32 v3, v3, v5, 0xfd7046c5
	v_lshrrev_b32_e32 v5, 16, v3
	s_delay_alu instid0(VALU_DEP_1) | instskip(NEXT) | instid1(VALU_DEP_1)
	v_xor3_b32 v3, v3, v5, 0xb55a4f09
	v_mul_hi_u32 v5, v3, 3
	s_delay_alu instid0(VALU_DEP_1) | instskip(NEXT) | instid1(VALU_DEP_1)
	v_sub_nc_u32_e32 v6, v3, v5
	v_lshrrev_b32_e32 v6, 1, v6
	s_delay_alu instid0(VALU_DEP_1) | instskip(NEXT) | instid1(VALU_DEP_1)
	v_add_nc_u32_e32 v5, v6, v5
	v_lshrrev_b32_e32 v5, 30, v5
	s_delay_alu instid0(VALU_DEP_1) | instskip(NEXT) | instid1(VALU_DEP_1)
	v_mul_lo_u32 v5, 0x7fffffff, v5
	v_sub_nc_u32_e32 v3, v3, v5
	s_delay_alu instid0(VALU_DEP_1)
	v_max_u32_e32 v5, 1, v3
	v_mov_b32_e32 v3, 0
.LBB18_29:                              ; =>This Inner Loop Header: Depth=1
	s_delay_alu instid0(VALU_DEP_2) | instskip(SKIP_1) | instid1(SALU_CYCLE_1)
	v_mul_hi_u32 v6, 0xbc8f1391, v5
	s_add_co_i32 s7, s7, -2
	s_cmp_lg_u32 s7, 0
	s_delay_alu instid0(VALU_DEP_1) | instskip(NEXT) | instid1(VALU_DEP_1)
	v_lshrrev_b32_e32 v6, 15, v6
	v_mul_u32_u24_e32 v7, 0xadc8, v6
	s_delay_alu instid0(VALU_DEP_1) | instskip(SKIP_1) | instid1(VALU_DEP_2)
	v_sub_nc_u32_e32 v5, v5, v7
	v_mul_u32_u24_e32 v6, 0xd47, v6
	v_mul_lo_u32 v5, 0xbc8f, v5
	s_delay_alu instid0(VALU_DEP_2) | instskip(SKIP_1) | instid1(VALU_DEP_3)
	v_xor_b32_e32 v7, 0x7fffffff, v6
	v_sub_nc_u32_e32 v8, 0, v6
	v_cmp_lt_u32_e32 vcc_lo, v5, v6
	s_delay_alu instid0(VALU_DEP_2) | instskip(NEXT) | instid1(VALU_DEP_1)
	v_cndmask_b32_e32 v6, v8, v7, vcc_lo
	v_add_nc_u32_e32 v5, v6, v5
	s_delay_alu instid0(VALU_DEP_1) | instskip(NEXT) | instid1(VALU_DEP_1)
	v_mul_hi_u32 v6, 0xbc8f1391, v5
	v_lshrrev_b32_e32 v6, 15, v6
	s_delay_alu instid0(VALU_DEP_1) | instskip(SKIP_1) | instid1(VALU_DEP_2)
	v_mul_u32_u24_e32 v7, 0xadc8, v6
	v_mul_u32_u24_e32 v6, 0xd47, v6
	v_sub_nc_u32_e32 v7, v5, v7
	s_delay_alu instid0(VALU_DEP_2) | instskip(SKIP_1) | instid1(VALU_DEP_3)
	v_xor_b32_e32 v8, 0x7fffffff, v6
	v_add_nc_u32_e32 v5, -1, v5
	v_mul_lo_u32 v7, 0xbc8f, v7
	v_sub_nc_u32_e32 v9, 0, v6
	s_delay_alu instid0(VALU_DEP_2) | instskip(NEXT) | instid1(VALU_DEP_2)
	v_cmp_lt_u32_e32 vcc_lo, v7, v6
	v_cndmask_b32_e32 v6, v9, v8, vcc_lo
	s_delay_alu instid0(VALU_DEP_1) | instskip(NEXT) | instid1(VALU_DEP_1)
	v_add_nc_u32_e32 v7, v6, v7
	v_mul_hi_u32 v6, 0xbc8f1391, v7
	s_delay_alu instid0(VALU_DEP_1) | instskip(NEXT) | instid1(VALU_DEP_1)
	v_lshrrev_b32_e32 v6, 15, v6
	v_mul_u32_u24_e32 v8, 0xadc8, v6
	v_mul_u32_u24_e32 v6, 0xd47, v6
	s_delay_alu instid0(VALU_DEP_2) | instskip(NEXT) | instid1(VALU_DEP_2)
	v_sub_nc_u32_e32 v8, v7, v8
	v_xor_b32_e32 v9, 0x7fffffff, v6
	s_delay_alu instid0(VALU_DEP_2) | instskip(SKIP_1) | instid1(VALU_DEP_2)
	v_mul_lo_u32 v8, 0xbc8f, v8
	v_sub_nc_u32_e32 v10, 0, v6
	v_cmp_lt_u32_e32 vcc_lo, v8, v6
	s_delay_alu instid0(VALU_DEP_2) | instskip(NEXT) | instid1(VALU_DEP_1)
	v_dual_cndmask_b32 v6, v10, v9, vcc_lo :: v_dual_add_f32 v10, 1.0, v3
	v_add_nc_u32_e32 v8, v6, v8
	s_delay_alu instid0(VALU_DEP_1) | instskip(NEXT) | instid1(VALU_DEP_1)
	v_mul_hi_u32 v6, 0xbc8f1391, v8
	v_lshrrev_b32_e32 v6, 15, v6
	s_delay_alu instid0(VALU_DEP_1) | instskip(SKIP_2) | instid1(VALU_DEP_3)
	v_mul_u32_u24_e32 v9, 0xadc8, v6
	v_mul_u32_u24_e32 v11, 0xd47, v6
	v_cvt_f32_u32_e32 v6, v5
	v_sub_nc_u32_e32 v9, v8, v9
	s_delay_alu instid0(VALU_DEP_3) | instskip(SKIP_1) | instid1(VALU_DEP_3)
	v_xor_b32_e32 v5, 0x7fffffff, v11
	v_dual_sub_nc_u32 v12, 0, v11 :: v_dual_add_nc_u32 v8, -1, v8
	v_mul_lo_u32 v9, 0xbc8f, v9
	s_delay_alu instid0(VALU_DEP_2) | instskip(NEXT) | instid1(VALU_DEP_2)
	v_cvt_f32_u32_e32 v8, v8
	v_cmp_lt_u32_e32 vcc_lo, v9, v11
	s_delay_alu instid0(VALU_DEP_4) | instskip(NEXT) | instid1(VALU_DEP_1)
	v_dual_add_nc_u32 v7, -1, v7 :: v_dual_cndmask_b32 v5, v12, v5, vcc_lo
	v_cvt_f32_u32_e32 v7, v7
	s_delay_alu instid0(VALU_DEP_2) | instskip(NEXT) | instid1(VALU_DEP_2)
	v_add_nc_u32_e32 v5, v5, v9
	v_pk_fma_f32 v[6:7], v[6:7], s[8:9], 0 op_sel_hi:[1,0,0]
	s_delay_alu instid0(VALU_DEP_1) | instskip(NEXT) | instid1(VALU_DEP_1)
	v_pk_mul_f32 v[6:7], v[6:7], v[6:7]
	v_dual_add_nc_u32 v9, -1, v5 :: v_dual_add_f32 v11, v6, v7
	s_delay_alu instid0(VALU_DEP_1) | instskip(NEXT) | instid1(VALU_DEP_2)
	v_cvt_f32_u32_e32 v9, v9
	v_cmp_gt_f32_e32 vcc_lo, 0xf800000, v11
	s_delay_alu instid0(VALU_DEP_2) | instskip(NEXT) | instid1(VALU_DEP_1)
	v_pk_fma_f32 v[6:7], v[8:9], s[8:9], 0 op_sel_hi:[1,0,0]
	v_pk_mul_f32 v[6:7], v[6:7], v[6:7]
	s_delay_alu instid0(VALU_DEP_1) | instskip(NEXT) | instid1(VALU_DEP_1)
	v_add_f32_e32 v6, v6, v7
	v_dual_mul_f32 v8, 0x4f800000, v11 :: v_dual_mul_f32 v9, 0x4f800000, v6
	s_delay_alu instid0(VALU_DEP_1) | instskip(SKIP_1) | instid1(VALU_DEP_2)
	v_cndmask_b32_e32 v8, v11, v8, vcc_lo
	v_cmp_gt_f32_e64 s5, 0xf800000, v6
	v_sqrt_f32_e32 v7, v8
	v_nop
	s_delay_alu instid0(TRANS32_DEP_1) | instskip(NEXT) | instid1(VALU_DEP_1)
	v_dual_add_nc_u32 v11, -1, v7 :: v_dual_cndmask_b32 v6, v6, v9, s5
	v_dual_add_nc_u32 v9, 1, v7 :: v_dual_fma_f32 v12, -v11, v7, v8
	s_delay_alu instid0(VALU_DEP_2) | instskip(NEXT) | instid1(VALU_DEP_1)
	v_sqrt_f32_e32 v13, v6
	v_fma_f32 v14, -v9, v7, v8
	s_delay_alu instid0(VALU_DEP_2)
	v_cmp_ge_f32_e64 s6, 0, v12
	s_delay_alu instid0(TRANS32_DEP_1) | instid1(VALU_DEP_1)
	v_dual_cndmask_b32 v7, v7, v11, s6 :: v_dual_add_nc_u32 v11, -1, v13
	s_delay_alu instid0(VALU_DEP_3) | instskip(NEXT) | instid1(VALU_DEP_1)
	v_cmp_lt_f32_e64 s6, 0, v14
	v_cndmask_b32_e64 v7, v7, v9, s6
	s_delay_alu instid0(VALU_DEP_3) | instskip(NEXT) | instid1(VALU_DEP_1)
	v_dual_add_nc_u32 v9, 1, v13 :: v_dual_fma_f32 v12, -v11, v13, v6
	v_fma_f32 v15, -v9, v13, v6
	s_delay_alu instid0(VALU_DEP_2) | instskip(NEXT) | instid1(VALU_DEP_1)
	v_cmp_ge_f32_e64 s6, 0, v12
	v_cndmask_b32_e64 v11, v13, v11, s6
	v_mul_f32_e32 v14, 0x37800000, v7
	s_delay_alu instid0(VALU_DEP_4) | instskip(NEXT) | instid1(VALU_DEP_1)
	v_cmp_lt_f32_e64 s6, 0, v15
	v_cndmask_b32_e64 v9, v11, v9, s6
	s_delay_alu instid0(VALU_DEP_3) | instskip(SKIP_1) | instid1(VALU_DEP_2)
	v_cndmask_b32_e32 v7, v7, v14, vcc_lo
	v_cmp_class_f32_e64 vcc_lo, v8, 0x260
	v_cndmask_b32_e32 v7, v7, v8, vcc_lo
	s_delay_alu instid0(VALU_DEP_1) | instskip(SKIP_2) | instid1(VALU_DEP_2)
	v_cmp_nge_f32_e32 vcc_lo, 1.0, v7
	v_dual_cndmask_b32 v3, v10, v3 :: v_dual_mul_f32 v8, 0x37800000, v9
	v_cmp_class_f32_e64 vcc_lo, v6, 0x260
	v_dual_cndmask_b32 v7, v9, v8, s5 :: v_dual_add_f32 v8, 1.0, v3
	s_delay_alu instid0(VALU_DEP_1) | instskip(NEXT) | instid1(VALU_DEP_1)
	v_cndmask_b32_e32 v6, v7, v6, vcc_lo
	v_cmp_nge_f32_e32 vcc_lo, 1.0, v6
	s_delay_alu instid0(VALU_DEP_3)
	v_cndmask_b32_e32 v3, v8, v3, vcc_lo
	s_cbranch_scc1 .LBB18_29
; %bb.30:
	s_delay_alu instid0(VALU_DEP_1) | instskip(NEXT) | instid1(VALU_DEP_1)
	v_mul_f32_e32 v3, 4.0, v3
	v_div_scale_f32 v5, null, 0x461c4000, 0x461c4000, v3
	s_delay_alu instid0(VALU_DEP_1) | instskip(SKIP_1) | instid1(TRANS32_DEP_1)
	v_rcp_f32_e32 v6, v5
	v_nop
	v_fma_f32 v7, -v5, v6, 1.0
	s_delay_alu instid0(VALU_DEP_1) | instskip(SKIP_1) | instid1(VALU_DEP_1)
	v_fmac_f32_e32 v6, v7, v6
	v_div_scale_f32 v7, vcc_lo, v3, 0x461c4000, v3
	v_mul_f32_e32 v8, v7, v6
	s_delay_alu instid0(VALU_DEP_1) | instskip(NEXT) | instid1(VALU_DEP_1)
	v_fma_f32 v9, -v5, v8, v7
	v_fmac_f32_e32 v8, v9, v6
	s_delay_alu instid0(VALU_DEP_1) | instskip(NEXT) | instid1(VALU_DEP_1)
	v_fma_f32 v5, -v5, v8, v7
	v_div_fmas_f32 v5, v5, v6, v8
	s_delay_alu instid0(VALU_DEP_1)
	v_div_fixup_f32 v3, v5, 0x461c4000, v3
.LBB18_31:
	s_or_b32 exec_lo, exec_lo, s20
	v_add_f32_e32 v1, v2, v1
	s_delay_alu instid0(VALU_DEP_1) | instskip(SKIP_1) | instid1(VALU_DEP_2)
	v_cndmask_b32_e64 v2, v2, v1, s2
	v_mbcnt_lo_u32_b32 v1, -1, 0
	v_add_f32_e32 v4, v4, v2
	s_delay_alu instid0(VALU_DEP_2) | instskip(SKIP_2) | instid1(VALU_DEP_4)
	v_cmp_ne_u32_e32 vcc_lo, 31, v1
	v_cmp_gt_u32_e64 s2, 28, v1
	v_dual_add_nc_u32 v6, 1, v1 :: v_dual_add_nc_u32 v7, 2, v1
	v_cndmask_b32_e64 v2, v2, v4, s3
	v_add_co_ci_u32_e64 v4, null, 0, v1, vcc_lo
	s_min_u32 s3, s9, 0x100
	v_cmp_gt_u32_e32 vcc_lo, 30, v1
	v_dual_add_f32 v3, v3, v2 :: v_dual_lshlrev_b32 v4, 2, v4
	v_cndmask_b32_e64 v5, 0, 2, vcc_lo
	s_delay_alu instid0(VALU_DEP_2) | instskip(NEXT) | instid1(VALU_DEP_2)
	v_cndmask_b32_e64 v2, v2, v3, s4
	v_add_lshl_u32 v5, v5, v1, 2
	ds_bpermute_b32 v3, v4, v2
	v_and_b32_e32 v4, 0xe0, v0
	s_delay_alu instid0(VALU_DEP_1) | instskip(NEXT) | instid1(VALU_DEP_1)
	v_sub_nc_u32_e64 v4, s3, v4 clamp
	v_cmp_lt_u32_e32 vcc_lo, v6, v4
	v_cndmask_b32_e64 v6, 0, 4, s2
	v_cmp_lt_u32_e64 s2, v7, v4
	v_add_nc_u32_e32 v7, 4, v1
	s_delay_alu instid0(VALU_DEP_3) | instskip(SKIP_2) | instid1(VALU_DEP_1)
	v_add_lshl_u32 v6, v6, v1, 2
	s_wait_dscnt 0x0
	v_add_f32_e32 v3, v2, v3
	v_cndmask_b32_e32 v3, v2, v3, vcc_lo
	ds_bpermute_b32 v5, v5, v3
	s_wait_dscnt 0x0
	v_add_f32_e32 v5, v3, v5
	s_delay_alu instid0(VALU_DEP_1)
	v_cndmask_b32_e64 v3, v3, v5, s2
	v_cmp_gt_u32_e64 s2, 24, v1
	ds_bpermute_b32 v5, v6, v3
	v_cndmask_b32_e64 v6, 0, 8, s2
	v_cmp_lt_u32_e64 s2, v7, v4
	v_add_nc_u32_e32 v7, 8, v1
	s_delay_alu instid0(VALU_DEP_3) | instskip(SKIP_2) | instid1(VALU_DEP_1)
	v_add_lshl_u32 v6, v6, v1, 2
	s_wait_dscnt 0x0
	v_add_f32_e32 v5, v3, v5
	v_cndmask_b32_e64 v5, v3, v5, s2
	v_cmp_lt_u32_e64 s2, v7, v4
	ds_bpermute_b32 v6, v6, v5
	s_wait_dscnt 0x0
	v_dual_add_f32 v6, v5, v6 :: v_dual_lshlrev_b32 v3, 2, v1
	s_delay_alu instid0(VALU_DEP_1) | instskip(SKIP_3) | instid1(VALU_DEP_1)
	v_dual_cndmask_b32 v5, v5, v6, s2 :: v_dual_bitop2_b32 v8, 64, v3 bitop3:0x54
	ds_bpermute_b32 v6, v8, v5
	s_wait_dscnt 0x0
	v_dual_add_f32 v6, v5, v6 :: v_dual_add_nc_u32 v7, 16, v1
	v_cmp_lt_u32_e64 s2, v7, v4
	s_delay_alu instid0(VALU_DEP_1) | instskip(SKIP_1) | instid1(VALU_DEP_1)
	v_cndmask_b32_e64 v4, v5, v6, s2
	s_mov_b32 s2, exec_lo
	v_cndmask_b32_e32 v2, v2, v4, vcc_lo
	v_cmpx_eq_u32_e32 0, v1
; %bb.32:
	v_lshrrev_b32_e32 v4, 3, v0
	s_delay_alu instid0(VALU_DEP_1)
	v_and_b32_e32 v4, 28, v4
	ds_store_b32 v4, v2 offset:32
; %bb.33:
	s_or_b32 exec_lo, exec_lo, s2
	s_delay_alu instid0(SALU_CYCLE_1)
	s_mov_b32 s4, exec_lo
	s_wait_dscnt 0x0
	s_barrier_signal -1
	s_barrier_wait -1
	v_cmpx_gt_u32_e32 8, v0
	s_cbranch_execz .LBB18_35
; %bb.34:
	ds_load_b32 v2, v3 offset:32
	v_and_b32_e32 v4, 7, v1
	s_add_co_i32 s3, s3, 31
	v_or_b32_e32 v3, 16, v3
	s_lshr_b32 s3, s3, 5
	s_delay_alu instid0(VALU_DEP_2) | instskip(SKIP_3) | instid1(VALU_DEP_2)
	v_cmp_ne_u32_e32 vcc_lo, 7, v4
	v_add_nc_u32_e32 v7, 1, v4
	v_add_co_ci_u32_e64 v5, null, 0, v1, vcc_lo
	v_cmp_gt_u32_e32 vcc_lo, 6, v4
	v_lshlrev_b32_e32 v5, 2, v5
	v_cndmask_b32_e64 v6, 0, 2, vcc_lo
	v_cmp_gt_u32_e32 vcc_lo, s3, v7
	s_wait_dscnt 0x0
	ds_bpermute_b32 v5, v5, v2
	v_add_lshl_u32 v1, v6, v1, 2
	s_wait_dscnt 0x0
	v_add_f32_e32 v5, v2, v5
	s_delay_alu instid0(VALU_DEP_1) | instskip(SKIP_4) | instid1(VALU_DEP_2)
	v_cndmask_b32_e32 v5, v2, v5, vcc_lo
	ds_bpermute_b32 v1, v1, v5
	s_wait_dscnt 0x0
	v_dual_add_f32 v1, v5, v1 :: v_dual_add_nc_u32 v6, 2, v4
	v_add_nc_u32_e32 v4, 4, v4
	v_cmp_gt_u32_e64 s2, s3, v6
	s_delay_alu instid0(VALU_DEP_1) | instskip(NEXT) | instid1(VALU_DEP_3)
	v_cndmask_b32_e64 v1, v5, v1, s2
	v_cmp_gt_u32_e64 s2, s3, v4
	ds_bpermute_b32 v3, v3, v1
	s_wait_dscnt 0x0
	v_add_f32_e32 v3, v1, v3
	s_delay_alu instid0(VALU_DEP_1) | instskip(NEXT) | instid1(VALU_DEP_1)
	v_cndmask_b32_e64 v1, v1, v3, s2
	v_cndmask_b32_e32 v2, v2, v1, vcc_lo
.LBB18_35:
	s_or_b32 exec_lo, exec_lo, s4
.LBB18_36:
	s_load_b32 s0, s[0:1], 0x30
	s_wait_xcnt 0x0
	s_mov_b32 s1, exec_lo
	v_cmpx_eq_u32_e32 0, v0
	s_cbranch_execz .LBB18_38
; %bb.37:
	s_mul_u64 s[2:3], s[16:17], s[14:15]
	v_mov_b32_e32 v1, 0
	s_lshl_b64 s[2:3], s[2:3], 2
	s_cmp_eq_u64 s[10:11], 0
	s_add_nc_u64 s[2:3], s[12:13], s[2:3]
	s_cselect_b32 s1, -1, 0
	s_wait_kmcnt 0x0
	v_cndmask_b32_e64 v0, v2, s0, s1
	s_lshl_b64 s[0:1], s[18:19], 2
	s_delay_alu instid0(SALU_CYCLE_1)
	s_add_nc_u64 s[0:1], s[2:3], s[0:1]
	global_store_b32 v1, v0, s[0:1]
.LBB18_38:
	s_endpgm
	.section	.rodata,"a",@progbits
	.p2align	6, 0x0
	.amdhsa_kernel _ZN7rocprim17ROCPRIM_400000_NS6detail17trampoline_kernelINS0_14default_configENS1_22reduce_config_selectorIfEEZNS1_11reduce_implILb1ES3_N6thrust23THRUST_200600_302600_NS11hip_rocprim26transform_input_iterator_tIfNS8_17counting_iteratorIiNS8_11use_defaultESC_SC_EE11estimate_piEEPffNS8_4plusIfEEEE10hipError_tPvRmT1_T2_T3_mT4_P12ihipStream_tbEUlT_E0_NS1_11comp_targetILNS1_3genE0ELNS1_11target_archE4294967295ELNS1_3gpuE0ELNS1_3repE0EEENS1_30default_config_static_selectorELNS0_4arch9wavefront6targetE0EEEvSM_
		.amdhsa_group_segment_fixed_size 64
		.amdhsa_private_segment_fixed_size 0
		.amdhsa_kernarg_size 56
		.amdhsa_user_sgpr_count 2
		.amdhsa_user_sgpr_dispatch_ptr 0
		.amdhsa_user_sgpr_queue_ptr 0
		.amdhsa_user_sgpr_kernarg_segment_ptr 1
		.amdhsa_user_sgpr_dispatch_id 0
		.amdhsa_user_sgpr_kernarg_preload_length 0
		.amdhsa_user_sgpr_kernarg_preload_offset 0
		.amdhsa_user_sgpr_private_segment_size 0
		.amdhsa_wavefront_size32 1
		.amdhsa_uses_dynamic_stack 0
		.amdhsa_enable_private_segment 0
		.amdhsa_system_sgpr_workgroup_id_x 1
		.amdhsa_system_sgpr_workgroup_id_y 0
		.amdhsa_system_sgpr_workgroup_id_z 0
		.amdhsa_system_sgpr_workgroup_info 0
		.amdhsa_system_vgpr_workitem_id 0
		.amdhsa_next_free_vgpr 23
		.amdhsa_next_free_sgpr 21
		.amdhsa_named_barrier_count 0
		.amdhsa_reserve_vcc 1
		.amdhsa_float_round_mode_32 0
		.amdhsa_float_round_mode_16_64 0
		.amdhsa_float_denorm_mode_32 3
		.amdhsa_float_denorm_mode_16_64 3
		.amdhsa_fp16_overflow 0
		.amdhsa_memory_ordered 1
		.amdhsa_forward_progress 1
		.amdhsa_inst_pref_size 78
		.amdhsa_round_robin_scheduling 0
		.amdhsa_exception_fp_ieee_invalid_op 0
		.amdhsa_exception_fp_denorm_src 0
		.amdhsa_exception_fp_ieee_div_zero 0
		.amdhsa_exception_fp_ieee_overflow 0
		.amdhsa_exception_fp_ieee_underflow 0
		.amdhsa_exception_fp_ieee_inexact 0
		.amdhsa_exception_int_div_zero 0
	.end_amdhsa_kernel
	.section	.text._ZN7rocprim17ROCPRIM_400000_NS6detail17trampoline_kernelINS0_14default_configENS1_22reduce_config_selectorIfEEZNS1_11reduce_implILb1ES3_N6thrust23THRUST_200600_302600_NS11hip_rocprim26transform_input_iterator_tIfNS8_17counting_iteratorIiNS8_11use_defaultESC_SC_EE11estimate_piEEPffNS8_4plusIfEEEE10hipError_tPvRmT1_T2_T3_mT4_P12ihipStream_tbEUlT_E0_NS1_11comp_targetILNS1_3genE0ELNS1_11target_archE4294967295ELNS1_3gpuE0ELNS1_3repE0EEENS1_30default_config_static_selectorELNS0_4arch9wavefront6targetE0EEEvSM_,"axG",@progbits,_ZN7rocprim17ROCPRIM_400000_NS6detail17trampoline_kernelINS0_14default_configENS1_22reduce_config_selectorIfEEZNS1_11reduce_implILb1ES3_N6thrust23THRUST_200600_302600_NS11hip_rocprim26transform_input_iterator_tIfNS8_17counting_iteratorIiNS8_11use_defaultESC_SC_EE11estimate_piEEPffNS8_4plusIfEEEE10hipError_tPvRmT1_T2_T3_mT4_P12ihipStream_tbEUlT_E0_NS1_11comp_targetILNS1_3genE0ELNS1_11target_archE4294967295ELNS1_3gpuE0ELNS1_3repE0EEENS1_30default_config_static_selectorELNS0_4arch9wavefront6targetE0EEEvSM_,comdat
.Lfunc_end18:
	.size	_ZN7rocprim17ROCPRIM_400000_NS6detail17trampoline_kernelINS0_14default_configENS1_22reduce_config_selectorIfEEZNS1_11reduce_implILb1ES3_N6thrust23THRUST_200600_302600_NS11hip_rocprim26transform_input_iterator_tIfNS8_17counting_iteratorIiNS8_11use_defaultESC_SC_EE11estimate_piEEPffNS8_4plusIfEEEE10hipError_tPvRmT1_T2_T3_mT4_P12ihipStream_tbEUlT_E0_NS1_11comp_targetILNS1_3genE0ELNS1_11target_archE4294967295ELNS1_3gpuE0ELNS1_3repE0EEENS1_30default_config_static_selectorELNS0_4arch9wavefront6targetE0EEEvSM_, .Lfunc_end18-_ZN7rocprim17ROCPRIM_400000_NS6detail17trampoline_kernelINS0_14default_configENS1_22reduce_config_selectorIfEEZNS1_11reduce_implILb1ES3_N6thrust23THRUST_200600_302600_NS11hip_rocprim26transform_input_iterator_tIfNS8_17counting_iteratorIiNS8_11use_defaultESC_SC_EE11estimate_piEEPffNS8_4plusIfEEEE10hipError_tPvRmT1_T2_T3_mT4_P12ihipStream_tbEUlT_E0_NS1_11comp_targetILNS1_3genE0ELNS1_11target_archE4294967295ELNS1_3gpuE0ELNS1_3repE0EEENS1_30default_config_static_selectorELNS0_4arch9wavefront6targetE0EEEvSM_
                                        ; -- End function
	.set _ZN7rocprim17ROCPRIM_400000_NS6detail17trampoline_kernelINS0_14default_configENS1_22reduce_config_selectorIfEEZNS1_11reduce_implILb1ES3_N6thrust23THRUST_200600_302600_NS11hip_rocprim26transform_input_iterator_tIfNS8_17counting_iteratorIiNS8_11use_defaultESC_SC_EE11estimate_piEEPffNS8_4plusIfEEEE10hipError_tPvRmT1_T2_T3_mT4_P12ihipStream_tbEUlT_E0_NS1_11comp_targetILNS1_3genE0ELNS1_11target_archE4294967295ELNS1_3gpuE0ELNS1_3repE0EEENS1_30default_config_static_selectorELNS0_4arch9wavefront6targetE0EEEvSM_.num_vgpr, 23
	.set _ZN7rocprim17ROCPRIM_400000_NS6detail17trampoline_kernelINS0_14default_configENS1_22reduce_config_selectorIfEEZNS1_11reduce_implILb1ES3_N6thrust23THRUST_200600_302600_NS11hip_rocprim26transform_input_iterator_tIfNS8_17counting_iteratorIiNS8_11use_defaultESC_SC_EE11estimate_piEEPffNS8_4plusIfEEEE10hipError_tPvRmT1_T2_T3_mT4_P12ihipStream_tbEUlT_E0_NS1_11comp_targetILNS1_3genE0ELNS1_11target_archE4294967295ELNS1_3gpuE0ELNS1_3repE0EEENS1_30default_config_static_selectorELNS0_4arch9wavefront6targetE0EEEvSM_.num_agpr, 0
	.set _ZN7rocprim17ROCPRIM_400000_NS6detail17trampoline_kernelINS0_14default_configENS1_22reduce_config_selectorIfEEZNS1_11reduce_implILb1ES3_N6thrust23THRUST_200600_302600_NS11hip_rocprim26transform_input_iterator_tIfNS8_17counting_iteratorIiNS8_11use_defaultESC_SC_EE11estimate_piEEPffNS8_4plusIfEEEE10hipError_tPvRmT1_T2_T3_mT4_P12ihipStream_tbEUlT_E0_NS1_11comp_targetILNS1_3genE0ELNS1_11target_archE4294967295ELNS1_3gpuE0ELNS1_3repE0EEENS1_30default_config_static_selectorELNS0_4arch9wavefront6targetE0EEEvSM_.numbered_sgpr, 21
	.set _ZN7rocprim17ROCPRIM_400000_NS6detail17trampoline_kernelINS0_14default_configENS1_22reduce_config_selectorIfEEZNS1_11reduce_implILb1ES3_N6thrust23THRUST_200600_302600_NS11hip_rocprim26transform_input_iterator_tIfNS8_17counting_iteratorIiNS8_11use_defaultESC_SC_EE11estimate_piEEPffNS8_4plusIfEEEE10hipError_tPvRmT1_T2_T3_mT4_P12ihipStream_tbEUlT_E0_NS1_11comp_targetILNS1_3genE0ELNS1_11target_archE4294967295ELNS1_3gpuE0ELNS1_3repE0EEENS1_30default_config_static_selectorELNS0_4arch9wavefront6targetE0EEEvSM_.num_named_barrier, 0
	.set _ZN7rocprim17ROCPRIM_400000_NS6detail17trampoline_kernelINS0_14default_configENS1_22reduce_config_selectorIfEEZNS1_11reduce_implILb1ES3_N6thrust23THRUST_200600_302600_NS11hip_rocprim26transform_input_iterator_tIfNS8_17counting_iteratorIiNS8_11use_defaultESC_SC_EE11estimate_piEEPffNS8_4plusIfEEEE10hipError_tPvRmT1_T2_T3_mT4_P12ihipStream_tbEUlT_E0_NS1_11comp_targetILNS1_3genE0ELNS1_11target_archE4294967295ELNS1_3gpuE0ELNS1_3repE0EEENS1_30default_config_static_selectorELNS0_4arch9wavefront6targetE0EEEvSM_.private_seg_size, 0
	.set _ZN7rocprim17ROCPRIM_400000_NS6detail17trampoline_kernelINS0_14default_configENS1_22reduce_config_selectorIfEEZNS1_11reduce_implILb1ES3_N6thrust23THRUST_200600_302600_NS11hip_rocprim26transform_input_iterator_tIfNS8_17counting_iteratorIiNS8_11use_defaultESC_SC_EE11estimate_piEEPffNS8_4plusIfEEEE10hipError_tPvRmT1_T2_T3_mT4_P12ihipStream_tbEUlT_E0_NS1_11comp_targetILNS1_3genE0ELNS1_11target_archE4294967295ELNS1_3gpuE0ELNS1_3repE0EEENS1_30default_config_static_selectorELNS0_4arch9wavefront6targetE0EEEvSM_.uses_vcc, 1
	.set _ZN7rocprim17ROCPRIM_400000_NS6detail17trampoline_kernelINS0_14default_configENS1_22reduce_config_selectorIfEEZNS1_11reduce_implILb1ES3_N6thrust23THRUST_200600_302600_NS11hip_rocprim26transform_input_iterator_tIfNS8_17counting_iteratorIiNS8_11use_defaultESC_SC_EE11estimate_piEEPffNS8_4plusIfEEEE10hipError_tPvRmT1_T2_T3_mT4_P12ihipStream_tbEUlT_E0_NS1_11comp_targetILNS1_3genE0ELNS1_11target_archE4294967295ELNS1_3gpuE0ELNS1_3repE0EEENS1_30default_config_static_selectorELNS0_4arch9wavefront6targetE0EEEvSM_.uses_flat_scratch, 0
	.set _ZN7rocprim17ROCPRIM_400000_NS6detail17trampoline_kernelINS0_14default_configENS1_22reduce_config_selectorIfEEZNS1_11reduce_implILb1ES3_N6thrust23THRUST_200600_302600_NS11hip_rocprim26transform_input_iterator_tIfNS8_17counting_iteratorIiNS8_11use_defaultESC_SC_EE11estimate_piEEPffNS8_4plusIfEEEE10hipError_tPvRmT1_T2_T3_mT4_P12ihipStream_tbEUlT_E0_NS1_11comp_targetILNS1_3genE0ELNS1_11target_archE4294967295ELNS1_3gpuE0ELNS1_3repE0EEENS1_30default_config_static_selectorELNS0_4arch9wavefront6targetE0EEEvSM_.has_dyn_sized_stack, 0
	.set _ZN7rocprim17ROCPRIM_400000_NS6detail17trampoline_kernelINS0_14default_configENS1_22reduce_config_selectorIfEEZNS1_11reduce_implILb1ES3_N6thrust23THRUST_200600_302600_NS11hip_rocprim26transform_input_iterator_tIfNS8_17counting_iteratorIiNS8_11use_defaultESC_SC_EE11estimate_piEEPffNS8_4plusIfEEEE10hipError_tPvRmT1_T2_T3_mT4_P12ihipStream_tbEUlT_E0_NS1_11comp_targetILNS1_3genE0ELNS1_11target_archE4294967295ELNS1_3gpuE0ELNS1_3repE0EEENS1_30default_config_static_selectorELNS0_4arch9wavefront6targetE0EEEvSM_.has_recursion, 0
	.set _ZN7rocprim17ROCPRIM_400000_NS6detail17trampoline_kernelINS0_14default_configENS1_22reduce_config_selectorIfEEZNS1_11reduce_implILb1ES3_N6thrust23THRUST_200600_302600_NS11hip_rocprim26transform_input_iterator_tIfNS8_17counting_iteratorIiNS8_11use_defaultESC_SC_EE11estimate_piEEPffNS8_4plusIfEEEE10hipError_tPvRmT1_T2_T3_mT4_P12ihipStream_tbEUlT_E0_NS1_11comp_targetILNS1_3genE0ELNS1_11target_archE4294967295ELNS1_3gpuE0ELNS1_3repE0EEENS1_30default_config_static_selectorELNS0_4arch9wavefront6targetE0EEEvSM_.has_indirect_call, 0
	.section	.AMDGPU.csdata,"",@progbits
; Kernel info:
; codeLenInByte = 9964
; TotalNumSgprs: 23
; NumVgprs: 23
; ScratchSize: 0
; MemoryBound: 0
; FloatMode: 240
; IeeeMode: 1
; LDSByteSize: 64 bytes/workgroup (compile time only)
; SGPRBlocks: 0
; VGPRBlocks: 1
; NumSGPRsForWavesPerEU: 23
; NumVGPRsForWavesPerEU: 23
; NamedBarCnt: 0
; Occupancy: 16
; WaveLimiterHint : 0
; COMPUTE_PGM_RSRC2:SCRATCH_EN: 0
; COMPUTE_PGM_RSRC2:USER_SGPR: 2
; COMPUTE_PGM_RSRC2:TRAP_HANDLER: 0
; COMPUTE_PGM_RSRC2:TGID_X_EN: 1
; COMPUTE_PGM_RSRC2:TGID_Y_EN: 0
; COMPUTE_PGM_RSRC2:TGID_Z_EN: 0
; COMPUTE_PGM_RSRC2:TIDIG_COMP_CNT: 0
	.section	.text._ZN7rocprim17ROCPRIM_400000_NS6detail17trampoline_kernelINS0_14default_configENS1_22reduce_config_selectorIfEEZNS1_11reduce_implILb1ES3_N6thrust23THRUST_200600_302600_NS11hip_rocprim26transform_input_iterator_tIfNS8_17counting_iteratorIiNS8_11use_defaultESC_SC_EE11estimate_piEEPffNS8_4plusIfEEEE10hipError_tPvRmT1_T2_T3_mT4_P12ihipStream_tbEUlT_E0_NS1_11comp_targetILNS1_3genE5ELNS1_11target_archE942ELNS1_3gpuE9ELNS1_3repE0EEENS1_30default_config_static_selectorELNS0_4arch9wavefront6targetE0EEEvSM_,"axG",@progbits,_ZN7rocprim17ROCPRIM_400000_NS6detail17trampoline_kernelINS0_14default_configENS1_22reduce_config_selectorIfEEZNS1_11reduce_implILb1ES3_N6thrust23THRUST_200600_302600_NS11hip_rocprim26transform_input_iterator_tIfNS8_17counting_iteratorIiNS8_11use_defaultESC_SC_EE11estimate_piEEPffNS8_4plusIfEEEE10hipError_tPvRmT1_T2_T3_mT4_P12ihipStream_tbEUlT_E0_NS1_11comp_targetILNS1_3genE5ELNS1_11target_archE942ELNS1_3gpuE9ELNS1_3repE0EEENS1_30default_config_static_selectorELNS0_4arch9wavefront6targetE0EEEvSM_,comdat
	.protected	_ZN7rocprim17ROCPRIM_400000_NS6detail17trampoline_kernelINS0_14default_configENS1_22reduce_config_selectorIfEEZNS1_11reduce_implILb1ES3_N6thrust23THRUST_200600_302600_NS11hip_rocprim26transform_input_iterator_tIfNS8_17counting_iteratorIiNS8_11use_defaultESC_SC_EE11estimate_piEEPffNS8_4plusIfEEEE10hipError_tPvRmT1_T2_T3_mT4_P12ihipStream_tbEUlT_E0_NS1_11comp_targetILNS1_3genE5ELNS1_11target_archE942ELNS1_3gpuE9ELNS1_3repE0EEENS1_30default_config_static_selectorELNS0_4arch9wavefront6targetE0EEEvSM_ ; -- Begin function _ZN7rocprim17ROCPRIM_400000_NS6detail17trampoline_kernelINS0_14default_configENS1_22reduce_config_selectorIfEEZNS1_11reduce_implILb1ES3_N6thrust23THRUST_200600_302600_NS11hip_rocprim26transform_input_iterator_tIfNS8_17counting_iteratorIiNS8_11use_defaultESC_SC_EE11estimate_piEEPffNS8_4plusIfEEEE10hipError_tPvRmT1_T2_T3_mT4_P12ihipStream_tbEUlT_E0_NS1_11comp_targetILNS1_3genE5ELNS1_11target_archE942ELNS1_3gpuE9ELNS1_3repE0EEENS1_30default_config_static_selectorELNS0_4arch9wavefront6targetE0EEEvSM_
	.globl	_ZN7rocprim17ROCPRIM_400000_NS6detail17trampoline_kernelINS0_14default_configENS1_22reduce_config_selectorIfEEZNS1_11reduce_implILb1ES3_N6thrust23THRUST_200600_302600_NS11hip_rocprim26transform_input_iterator_tIfNS8_17counting_iteratorIiNS8_11use_defaultESC_SC_EE11estimate_piEEPffNS8_4plusIfEEEE10hipError_tPvRmT1_T2_T3_mT4_P12ihipStream_tbEUlT_E0_NS1_11comp_targetILNS1_3genE5ELNS1_11target_archE942ELNS1_3gpuE9ELNS1_3repE0EEENS1_30default_config_static_selectorELNS0_4arch9wavefront6targetE0EEEvSM_
	.p2align	8
	.type	_ZN7rocprim17ROCPRIM_400000_NS6detail17trampoline_kernelINS0_14default_configENS1_22reduce_config_selectorIfEEZNS1_11reduce_implILb1ES3_N6thrust23THRUST_200600_302600_NS11hip_rocprim26transform_input_iterator_tIfNS8_17counting_iteratorIiNS8_11use_defaultESC_SC_EE11estimate_piEEPffNS8_4plusIfEEEE10hipError_tPvRmT1_T2_T3_mT4_P12ihipStream_tbEUlT_E0_NS1_11comp_targetILNS1_3genE5ELNS1_11target_archE942ELNS1_3gpuE9ELNS1_3repE0EEENS1_30default_config_static_selectorELNS0_4arch9wavefront6targetE0EEEvSM_,@function
_ZN7rocprim17ROCPRIM_400000_NS6detail17trampoline_kernelINS0_14default_configENS1_22reduce_config_selectorIfEEZNS1_11reduce_implILb1ES3_N6thrust23THRUST_200600_302600_NS11hip_rocprim26transform_input_iterator_tIfNS8_17counting_iteratorIiNS8_11use_defaultESC_SC_EE11estimate_piEEPffNS8_4plusIfEEEE10hipError_tPvRmT1_T2_T3_mT4_P12ihipStream_tbEUlT_E0_NS1_11comp_targetILNS1_3genE5ELNS1_11target_archE942ELNS1_3gpuE9ELNS1_3repE0EEENS1_30default_config_static_selectorELNS0_4arch9wavefront6targetE0EEEvSM_: ; @_ZN7rocprim17ROCPRIM_400000_NS6detail17trampoline_kernelINS0_14default_configENS1_22reduce_config_selectorIfEEZNS1_11reduce_implILb1ES3_N6thrust23THRUST_200600_302600_NS11hip_rocprim26transform_input_iterator_tIfNS8_17counting_iteratorIiNS8_11use_defaultESC_SC_EE11estimate_piEEPffNS8_4plusIfEEEE10hipError_tPvRmT1_T2_T3_mT4_P12ihipStream_tbEUlT_E0_NS1_11comp_targetILNS1_3genE5ELNS1_11target_archE942ELNS1_3gpuE9ELNS1_3repE0EEENS1_30default_config_static_selectorELNS0_4arch9wavefront6targetE0EEEvSM_
; %bb.0:
	.section	.rodata,"a",@progbits
	.p2align	6, 0x0
	.amdhsa_kernel _ZN7rocprim17ROCPRIM_400000_NS6detail17trampoline_kernelINS0_14default_configENS1_22reduce_config_selectorIfEEZNS1_11reduce_implILb1ES3_N6thrust23THRUST_200600_302600_NS11hip_rocprim26transform_input_iterator_tIfNS8_17counting_iteratorIiNS8_11use_defaultESC_SC_EE11estimate_piEEPffNS8_4plusIfEEEE10hipError_tPvRmT1_T2_T3_mT4_P12ihipStream_tbEUlT_E0_NS1_11comp_targetILNS1_3genE5ELNS1_11target_archE942ELNS1_3gpuE9ELNS1_3repE0EEENS1_30default_config_static_selectorELNS0_4arch9wavefront6targetE0EEEvSM_
		.amdhsa_group_segment_fixed_size 0
		.amdhsa_private_segment_fixed_size 0
		.amdhsa_kernarg_size 56
		.amdhsa_user_sgpr_count 2
		.amdhsa_user_sgpr_dispatch_ptr 0
		.amdhsa_user_sgpr_queue_ptr 0
		.amdhsa_user_sgpr_kernarg_segment_ptr 1
		.amdhsa_user_sgpr_dispatch_id 0
		.amdhsa_user_sgpr_kernarg_preload_length 0
		.amdhsa_user_sgpr_kernarg_preload_offset 0
		.amdhsa_user_sgpr_private_segment_size 0
		.amdhsa_wavefront_size32 1
		.amdhsa_uses_dynamic_stack 0
		.amdhsa_enable_private_segment 0
		.amdhsa_system_sgpr_workgroup_id_x 1
		.amdhsa_system_sgpr_workgroup_id_y 0
		.amdhsa_system_sgpr_workgroup_id_z 0
		.amdhsa_system_sgpr_workgroup_info 0
		.amdhsa_system_vgpr_workitem_id 0
		.amdhsa_next_free_vgpr 1
		.amdhsa_next_free_sgpr 1
		.amdhsa_named_barrier_count 0
		.amdhsa_reserve_vcc 0
		.amdhsa_float_round_mode_32 0
		.amdhsa_float_round_mode_16_64 0
		.amdhsa_float_denorm_mode_32 3
		.amdhsa_float_denorm_mode_16_64 3
		.amdhsa_fp16_overflow 0
		.amdhsa_memory_ordered 1
		.amdhsa_forward_progress 1
		.amdhsa_inst_pref_size 0
		.amdhsa_round_robin_scheduling 0
		.amdhsa_exception_fp_ieee_invalid_op 0
		.amdhsa_exception_fp_denorm_src 0
		.amdhsa_exception_fp_ieee_div_zero 0
		.amdhsa_exception_fp_ieee_overflow 0
		.amdhsa_exception_fp_ieee_underflow 0
		.amdhsa_exception_fp_ieee_inexact 0
		.amdhsa_exception_int_div_zero 0
	.end_amdhsa_kernel
	.section	.text._ZN7rocprim17ROCPRIM_400000_NS6detail17trampoline_kernelINS0_14default_configENS1_22reduce_config_selectorIfEEZNS1_11reduce_implILb1ES3_N6thrust23THRUST_200600_302600_NS11hip_rocprim26transform_input_iterator_tIfNS8_17counting_iteratorIiNS8_11use_defaultESC_SC_EE11estimate_piEEPffNS8_4plusIfEEEE10hipError_tPvRmT1_T2_T3_mT4_P12ihipStream_tbEUlT_E0_NS1_11comp_targetILNS1_3genE5ELNS1_11target_archE942ELNS1_3gpuE9ELNS1_3repE0EEENS1_30default_config_static_selectorELNS0_4arch9wavefront6targetE0EEEvSM_,"axG",@progbits,_ZN7rocprim17ROCPRIM_400000_NS6detail17trampoline_kernelINS0_14default_configENS1_22reduce_config_selectorIfEEZNS1_11reduce_implILb1ES3_N6thrust23THRUST_200600_302600_NS11hip_rocprim26transform_input_iterator_tIfNS8_17counting_iteratorIiNS8_11use_defaultESC_SC_EE11estimate_piEEPffNS8_4plusIfEEEE10hipError_tPvRmT1_T2_T3_mT4_P12ihipStream_tbEUlT_E0_NS1_11comp_targetILNS1_3genE5ELNS1_11target_archE942ELNS1_3gpuE9ELNS1_3repE0EEENS1_30default_config_static_selectorELNS0_4arch9wavefront6targetE0EEEvSM_,comdat
.Lfunc_end19:
	.size	_ZN7rocprim17ROCPRIM_400000_NS6detail17trampoline_kernelINS0_14default_configENS1_22reduce_config_selectorIfEEZNS1_11reduce_implILb1ES3_N6thrust23THRUST_200600_302600_NS11hip_rocprim26transform_input_iterator_tIfNS8_17counting_iteratorIiNS8_11use_defaultESC_SC_EE11estimate_piEEPffNS8_4plusIfEEEE10hipError_tPvRmT1_T2_T3_mT4_P12ihipStream_tbEUlT_E0_NS1_11comp_targetILNS1_3genE5ELNS1_11target_archE942ELNS1_3gpuE9ELNS1_3repE0EEENS1_30default_config_static_selectorELNS0_4arch9wavefront6targetE0EEEvSM_, .Lfunc_end19-_ZN7rocprim17ROCPRIM_400000_NS6detail17trampoline_kernelINS0_14default_configENS1_22reduce_config_selectorIfEEZNS1_11reduce_implILb1ES3_N6thrust23THRUST_200600_302600_NS11hip_rocprim26transform_input_iterator_tIfNS8_17counting_iteratorIiNS8_11use_defaultESC_SC_EE11estimate_piEEPffNS8_4plusIfEEEE10hipError_tPvRmT1_T2_T3_mT4_P12ihipStream_tbEUlT_E0_NS1_11comp_targetILNS1_3genE5ELNS1_11target_archE942ELNS1_3gpuE9ELNS1_3repE0EEENS1_30default_config_static_selectorELNS0_4arch9wavefront6targetE0EEEvSM_
                                        ; -- End function
	.set _ZN7rocprim17ROCPRIM_400000_NS6detail17trampoline_kernelINS0_14default_configENS1_22reduce_config_selectorIfEEZNS1_11reduce_implILb1ES3_N6thrust23THRUST_200600_302600_NS11hip_rocprim26transform_input_iterator_tIfNS8_17counting_iteratorIiNS8_11use_defaultESC_SC_EE11estimate_piEEPffNS8_4plusIfEEEE10hipError_tPvRmT1_T2_T3_mT4_P12ihipStream_tbEUlT_E0_NS1_11comp_targetILNS1_3genE5ELNS1_11target_archE942ELNS1_3gpuE9ELNS1_3repE0EEENS1_30default_config_static_selectorELNS0_4arch9wavefront6targetE0EEEvSM_.num_vgpr, 0
	.set _ZN7rocprim17ROCPRIM_400000_NS6detail17trampoline_kernelINS0_14default_configENS1_22reduce_config_selectorIfEEZNS1_11reduce_implILb1ES3_N6thrust23THRUST_200600_302600_NS11hip_rocprim26transform_input_iterator_tIfNS8_17counting_iteratorIiNS8_11use_defaultESC_SC_EE11estimate_piEEPffNS8_4plusIfEEEE10hipError_tPvRmT1_T2_T3_mT4_P12ihipStream_tbEUlT_E0_NS1_11comp_targetILNS1_3genE5ELNS1_11target_archE942ELNS1_3gpuE9ELNS1_3repE0EEENS1_30default_config_static_selectorELNS0_4arch9wavefront6targetE0EEEvSM_.num_agpr, 0
	.set _ZN7rocprim17ROCPRIM_400000_NS6detail17trampoline_kernelINS0_14default_configENS1_22reduce_config_selectorIfEEZNS1_11reduce_implILb1ES3_N6thrust23THRUST_200600_302600_NS11hip_rocprim26transform_input_iterator_tIfNS8_17counting_iteratorIiNS8_11use_defaultESC_SC_EE11estimate_piEEPffNS8_4plusIfEEEE10hipError_tPvRmT1_T2_T3_mT4_P12ihipStream_tbEUlT_E0_NS1_11comp_targetILNS1_3genE5ELNS1_11target_archE942ELNS1_3gpuE9ELNS1_3repE0EEENS1_30default_config_static_selectorELNS0_4arch9wavefront6targetE0EEEvSM_.numbered_sgpr, 0
	.set _ZN7rocprim17ROCPRIM_400000_NS6detail17trampoline_kernelINS0_14default_configENS1_22reduce_config_selectorIfEEZNS1_11reduce_implILb1ES3_N6thrust23THRUST_200600_302600_NS11hip_rocprim26transform_input_iterator_tIfNS8_17counting_iteratorIiNS8_11use_defaultESC_SC_EE11estimate_piEEPffNS8_4plusIfEEEE10hipError_tPvRmT1_T2_T3_mT4_P12ihipStream_tbEUlT_E0_NS1_11comp_targetILNS1_3genE5ELNS1_11target_archE942ELNS1_3gpuE9ELNS1_3repE0EEENS1_30default_config_static_selectorELNS0_4arch9wavefront6targetE0EEEvSM_.num_named_barrier, 0
	.set _ZN7rocprim17ROCPRIM_400000_NS6detail17trampoline_kernelINS0_14default_configENS1_22reduce_config_selectorIfEEZNS1_11reduce_implILb1ES3_N6thrust23THRUST_200600_302600_NS11hip_rocprim26transform_input_iterator_tIfNS8_17counting_iteratorIiNS8_11use_defaultESC_SC_EE11estimate_piEEPffNS8_4plusIfEEEE10hipError_tPvRmT1_T2_T3_mT4_P12ihipStream_tbEUlT_E0_NS1_11comp_targetILNS1_3genE5ELNS1_11target_archE942ELNS1_3gpuE9ELNS1_3repE0EEENS1_30default_config_static_selectorELNS0_4arch9wavefront6targetE0EEEvSM_.private_seg_size, 0
	.set _ZN7rocprim17ROCPRIM_400000_NS6detail17trampoline_kernelINS0_14default_configENS1_22reduce_config_selectorIfEEZNS1_11reduce_implILb1ES3_N6thrust23THRUST_200600_302600_NS11hip_rocprim26transform_input_iterator_tIfNS8_17counting_iteratorIiNS8_11use_defaultESC_SC_EE11estimate_piEEPffNS8_4plusIfEEEE10hipError_tPvRmT1_T2_T3_mT4_P12ihipStream_tbEUlT_E0_NS1_11comp_targetILNS1_3genE5ELNS1_11target_archE942ELNS1_3gpuE9ELNS1_3repE0EEENS1_30default_config_static_selectorELNS0_4arch9wavefront6targetE0EEEvSM_.uses_vcc, 0
	.set _ZN7rocprim17ROCPRIM_400000_NS6detail17trampoline_kernelINS0_14default_configENS1_22reduce_config_selectorIfEEZNS1_11reduce_implILb1ES3_N6thrust23THRUST_200600_302600_NS11hip_rocprim26transform_input_iterator_tIfNS8_17counting_iteratorIiNS8_11use_defaultESC_SC_EE11estimate_piEEPffNS8_4plusIfEEEE10hipError_tPvRmT1_T2_T3_mT4_P12ihipStream_tbEUlT_E0_NS1_11comp_targetILNS1_3genE5ELNS1_11target_archE942ELNS1_3gpuE9ELNS1_3repE0EEENS1_30default_config_static_selectorELNS0_4arch9wavefront6targetE0EEEvSM_.uses_flat_scratch, 0
	.set _ZN7rocprim17ROCPRIM_400000_NS6detail17trampoline_kernelINS0_14default_configENS1_22reduce_config_selectorIfEEZNS1_11reduce_implILb1ES3_N6thrust23THRUST_200600_302600_NS11hip_rocprim26transform_input_iterator_tIfNS8_17counting_iteratorIiNS8_11use_defaultESC_SC_EE11estimate_piEEPffNS8_4plusIfEEEE10hipError_tPvRmT1_T2_T3_mT4_P12ihipStream_tbEUlT_E0_NS1_11comp_targetILNS1_3genE5ELNS1_11target_archE942ELNS1_3gpuE9ELNS1_3repE0EEENS1_30default_config_static_selectorELNS0_4arch9wavefront6targetE0EEEvSM_.has_dyn_sized_stack, 0
	.set _ZN7rocprim17ROCPRIM_400000_NS6detail17trampoline_kernelINS0_14default_configENS1_22reduce_config_selectorIfEEZNS1_11reduce_implILb1ES3_N6thrust23THRUST_200600_302600_NS11hip_rocprim26transform_input_iterator_tIfNS8_17counting_iteratorIiNS8_11use_defaultESC_SC_EE11estimate_piEEPffNS8_4plusIfEEEE10hipError_tPvRmT1_T2_T3_mT4_P12ihipStream_tbEUlT_E0_NS1_11comp_targetILNS1_3genE5ELNS1_11target_archE942ELNS1_3gpuE9ELNS1_3repE0EEENS1_30default_config_static_selectorELNS0_4arch9wavefront6targetE0EEEvSM_.has_recursion, 0
	.set _ZN7rocprim17ROCPRIM_400000_NS6detail17trampoline_kernelINS0_14default_configENS1_22reduce_config_selectorIfEEZNS1_11reduce_implILb1ES3_N6thrust23THRUST_200600_302600_NS11hip_rocprim26transform_input_iterator_tIfNS8_17counting_iteratorIiNS8_11use_defaultESC_SC_EE11estimate_piEEPffNS8_4plusIfEEEE10hipError_tPvRmT1_T2_T3_mT4_P12ihipStream_tbEUlT_E0_NS1_11comp_targetILNS1_3genE5ELNS1_11target_archE942ELNS1_3gpuE9ELNS1_3repE0EEENS1_30default_config_static_selectorELNS0_4arch9wavefront6targetE0EEEvSM_.has_indirect_call, 0
	.section	.AMDGPU.csdata,"",@progbits
; Kernel info:
; codeLenInByte = 0
; TotalNumSgprs: 0
; NumVgprs: 0
; ScratchSize: 0
; MemoryBound: 0
; FloatMode: 240
; IeeeMode: 1
; LDSByteSize: 0 bytes/workgroup (compile time only)
; SGPRBlocks: 0
; VGPRBlocks: 0
; NumSGPRsForWavesPerEU: 1
; NumVGPRsForWavesPerEU: 1
; NamedBarCnt: 0
; Occupancy: 16
; WaveLimiterHint : 0
; COMPUTE_PGM_RSRC2:SCRATCH_EN: 0
; COMPUTE_PGM_RSRC2:USER_SGPR: 2
; COMPUTE_PGM_RSRC2:TRAP_HANDLER: 0
; COMPUTE_PGM_RSRC2:TGID_X_EN: 1
; COMPUTE_PGM_RSRC2:TGID_Y_EN: 0
; COMPUTE_PGM_RSRC2:TGID_Z_EN: 0
; COMPUTE_PGM_RSRC2:TIDIG_COMP_CNT: 0
	.section	.text._ZN7rocprim17ROCPRIM_400000_NS6detail17trampoline_kernelINS0_14default_configENS1_22reduce_config_selectorIfEEZNS1_11reduce_implILb1ES3_N6thrust23THRUST_200600_302600_NS11hip_rocprim26transform_input_iterator_tIfNS8_17counting_iteratorIiNS8_11use_defaultESC_SC_EE11estimate_piEEPffNS8_4plusIfEEEE10hipError_tPvRmT1_T2_T3_mT4_P12ihipStream_tbEUlT_E0_NS1_11comp_targetILNS1_3genE4ELNS1_11target_archE910ELNS1_3gpuE8ELNS1_3repE0EEENS1_30default_config_static_selectorELNS0_4arch9wavefront6targetE0EEEvSM_,"axG",@progbits,_ZN7rocprim17ROCPRIM_400000_NS6detail17trampoline_kernelINS0_14default_configENS1_22reduce_config_selectorIfEEZNS1_11reduce_implILb1ES3_N6thrust23THRUST_200600_302600_NS11hip_rocprim26transform_input_iterator_tIfNS8_17counting_iteratorIiNS8_11use_defaultESC_SC_EE11estimate_piEEPffNS8_4plusIfEEEE10hipError_tPvRmT1_T2_T3_mT4_P12ihipStream_tbEUlT_E0_NS1_11comp_targetILNS1_3genE4ELNS1_11target_archE910ELNS1_3gpuE8ELNS1_3repE0EEENS1_30default_config_static_selectorELNS0_4arch9wavefront6targetE0EEEvSM_,comdat
	.protected	_ZN7rocprim17ROCPRIM_400000_NS6detail17trampoline_kernelINS0_14default_configENS1_22reduce_config_selectorIfEEZNS1_11reduce_implILb1ES3_N6thrust23THRUST_200600_302600_NS11hip_rocprim26transform_input_iterator_tIfNS8_17counting_iteratorIiNS8_11use_defaultESC_SC_EE11estimate_piEEPffNS8_4plusIfEEEE10hipError_tPvRmT1_T2_T3_mT4_P12ihipStream_tbEUlT_E0_NS1_11comp_targetILNS1_3genE4ELNS1_11target_archE910ELNS1_3gpuE8ELNS1_3repE0EEENS1_30default_config_static_selectorELNS0_4arch9wavefront6targetE0EEEvSM_ ; -- Begin function _ZN7rocprim17ROCPRIM_400000_NS6detail17trampoline_kernelINS0_14default_configENS1_22reduce_config_selectorIfEEZNS1_11reduce_implILb1ES3_N6thrust23THRUST_200600_302600_NS11hip_rocprim26transform_input_iterator_tIfNS8_17counting_iteratorIiNS8_11use_defaultESC_SC_EE11estimate_piEEPffNS8_4plusIfEEEE10hipError_tPvRmT1_T2_T3_mT4_P12ihipStream_tbEUlT_E0_NS1_11comp_targetILNS1_3genE4ELNS1_11target_archE910ELNS1_3gpuE8ELNS1_3repE0EEENS1_30default_config_static_selectorELNS0_4arch9wavefront6targetE0EEEvSM_
	.globl	_ZN7rocprim17ROCPRIM_400000_NS6detail17trampoline_kernelINS0_14default_configENS1_22reduce_config_selectorIfEEZNS1_11reduce_implILb1ES3_N6thrust23THRUST_200600_302600_NS11hip_rocprim26transform_input_iterator_tIfNS8_17counting_iteratorIiNS8_11use_defaultESC_SC_EE11estimate_piEEPffNS8_4plusIfEEEE10hipError_tPvRmT1_T2_T3_mT4_P12ihipStream_tbEUlT_E0_NS1_11comp_targetILNS1_3genE4ELNS1_11target_archE910ELNS1_3gpuE8ELNS1_3repE0EEENS1_30default_config_static_selectorELNS0_4arch9wavefront6targetE0EEEvSM_
	.p2align	8
	.type	_ZN7rocprim17ROCPRIM_400000_NS6detail17trampoline_kernelINS0_14default_configENS1_22reduce_config_selectorIfEEZNS1_11reduce_implILb1ES3_N6thrust23THRUST_200600_302600_NS11hip_rocprim26transform_input_iterator_tIfNS8_17counting_iteratorIiNS8_11use_defaultESC_SC_EE11estimate_piEEPffNS8_4plusIfEEEE10hipError_tPvRmT1_T2_T3_mT4_P12ihipStream_tbEUlT_E0_NS1_11comp_targetILNS1_3genE4ELNS1_11target_archE910ELNS1_3gpuE8ELNS1_3repE0EEENS1_30default_config_static_selectorELNS0_4arch9wavefront6targetE0EEEvSM_,@function
_ZN7rocprim17ROCPRIM_400000_NS6detail17trampoline_kernelINS0_14default_configENS1_22reduce_config_selectorIfEEZNS1_11reduce_implILb1ES3_N6thrust23THRUST_200600_302600_NS11hip_rocprim26transform_input_iterator_tIfNS8_17counting_iteratorIiNS8_11use_defaultESC_SC_EE11estimate_piEEPffNS8_4plusIfEEEE10hipError_tPvRmT1_T2_T3_mT4_P12ihipStream_tbEUlT_E0_NS1_11comp_targetILNS1_3genE4ELNS1_11target_archE910ELNS1_3gpuE8ELNS1_3repE0EEENS1_30default_config_static_selectorELNS0_4arch9wavefront6targetE0EEEvSM_: ; @_ZN7rocprim17ROCPRIM_400000_NS6detail17trampoline_kernelINS0_14default_configENS1_22reduce_config_selectorIfEEZNS1_11reduce_implILb1ES3_N6thrust23THRUST_200600_302600_NS11hip_rocprim26transform_input_iterator_tIfNS8_17counting_iteratorIiNS8_11use_defaultESC_SC_EE11estimate_piEEPffNS8_4plusIfEEEE10hipError_tPvRmT1_T2_T3_mT4_P12ihipStream_tbEUlT_E0_NS1_11comp_targetILNS1_3genE4ELNS1_11target_archE910ELNS1_3gpuE8ELNS1_3repE0EEENS1_30default_config_static_selectorELNS0_4arch9wavefront6targetE0EEEvSM_
; %bb.0:
	.section	.rodata,"a",@progbits
	.p2align	6, 0x0
	.amdhsa_kernel _ZN7rocprim17ROCPRIM_400000_NS6detail17trampoline_kernelINS0_14default_configENS1_22reduce_config_selectorIfEEZNS1_11reduce_implILb1ES3_N6thrust23THRUST_200600_302600_NS11hip_rocprim26transform_input_iterator_tIfNS8_17counting_iteratorIiNS8_11use_defaultESC_SC_EE11estimate_piEEPffNS8_4plusIfEEEE10hipError_tPvRmT1_T2_T3_mT4_P12ihipStream_tbEUlT_E0_NS1_11comp_targetILNS1_3genE4ELNS1_11target_archE910ELNS1_3gpuE8ELNS1_3repE0EEENS1_30default_config_static_selectorELNS0_4arch9wavefront6targetE0EEEvSM_
		.amdhsa_group_segment_fixed_size 0
		.amdhsa_private_segment_fixed_size 0
		.amdhsa_kernarg_size 56
		.amdhsa_user_sgpr_count 2
		.amdhsa_user_sgpr_dispatch_ptr 0
		.amdhsa_user_sgpr_queue_ptr 0
		.amdhsa_user_sgpr_kernarg_segment_ptr 1
		.amdhsa_user_sgpr_dispatch_id 0
		.amdhsa_user_sgpr_kernarg_preload_length 0
		.amdhsa_user_sgpr_kernarg_preload_offset 0
		.amdhsa_user_sgpr_private_segment_size 0
		.amdhsa_wavefront_size32 1
		.amdhsa_uses_dynamic_stack 0
		.amdhsa_enable_private_segment 0
		.amdhsa_system_sgpr_workgroup_id_x 1
		.amdhsa_system_sgpr_workgroup_id_y 0
		.amdhsa_system_sgpr_workgroup_id_z 0
		.amdhsa_system_sgpr_workgroup_info 0
		.amdhsa_system_vgpr_workitem_id 0
		.amdhsa_next_free_vgpr 1
		.amdhsa_next_free_sgpr 1
		.amdhsa_named_barrier_count 0
		.amdhsa_reserve_vcc 0
		.amdhsa_float_round_mode_32 0
		.amdhsa_float_round_mode_16_64 0
		.amdhsa_float_denorm_mode_32 3
		.amdhsa_float_denorm_mode_16_64 3
		.amdhsa_fp16_overflow 0
		.amdhsa_memory_ordered 1
		.amdhsa_forward_progress 1
		.amdhsa_inst_pref_size 0
		.amdhsa_round_robin_scheduling 0
		.amdhsa_exception_fp_ieee_invalid_op 0
		.amdhsa_exception_fp_denorm_src 0
		.amdhsa_exception_fp_ieee_div_zero 0
		.amdhsa_exception_fp_ieee_overflow 0
		.amdhsa_exception_fp_ieee_underflow 0
		.amdhsa_exception_fp_ieee_inexact 0
		.amdhsa_exception_int_div_zero 0
	.end_amdhsa_kernel
	.section	.text._ZN7rocprim17ROCPRIM_400000_NS6detail17trampoline_kernelINS0_14default_configENS1_22reduce_config_selectorIfEEZNS1_11reduce_implILb1ES3_N6thrust23THRUST_200600_302600_NS11hip_rocprim26transform_input_iterator_tIfNS8_17counting_iteratorIiNS8_11use_defaultESC_SC_EE11estimate_piEEPffNS8_4plusIfEEEE10hipError_tPvRmT1_T2_T3_mT4_P12ihipStream_tbEUlT_E0_NS1_11comp_targetILNS1_3genE4ELNS1_11target_archE910ELNS1_3gpuE8ELNS1_3repE0EEENS1_30default_config_static_selectorELNS0_4arch9wavefront6targetE0EEEvSM_,"axG",@progbits,_ZN7rocprim17ROCPRIM_400000_NS6detail17trampoline_kernelINS0_14default_configENS1_22reduce_config_selectorIfEEZNS1_11reduce_implILb1ES3_N6thrust23THRUST_200600_302600_NS11hip_rocprim26transform_input_iterator_tIfNS8_17counting_iteratorIiNS8_11use_defaultESC_SC_EE11estimate_piEEPffNS8_4plusIfEEEE10hipError_tPvRmT1_T2_T3_mT4_P12ihipStream_tbEUlT_E0_NS1_11comp_targetILNS1_3genE4ELNS1_11target_archE910ELNS1_3gpuE8ELNS1_3repE0EEENS1_30default_config_static_selectorELNS0_4arch9wavefront6targetE0EEEvSM_,comdat
.Lfunc_end20:
	.size	_ZN7rocprim17ROCPRIM_400000_NS6detail17trampoline_kernelINS0_14default_configENS1_22reduce_config_selectorIfEEZNS1_11reduce_implILb1ES3_N6thrust23THRUST_200600_302600_NS11hip_rocprim26transform_input_iterator_tIfNS8_17counting_iteratorIiNS8_11use_defaultESC_SC_EE11estimate_piEEPffNS8_4plusIfEEEE10hipError_tPvRmT1_T2_T3_mT4_P12ihipStream_tbEUlT_E0_NS1_11comp_targetILNS1_3genE4ELNS1_11target_archE910ELNS1_3gpuE8ELNS1_3repE0EEENS1_30default_config_static_selectorELNS0_4arch9wavefront6targetE0EEEvSM_, .Lfunc_end20-_ZN7rocprim17ROCPRIM_400000_NS6detail17trampoline_kernelINS0_14default_configENS1_22reduce_config_selectorIfEEZNS1_11reduce_implILb1ES3_N6thrust23THRUST_200600_302600_NS11hip_rocprim26transform_input_iterator_tIfNS8_17counting_iteratorIiNS8_11use_defaultESC_SC_EE11estimate_piEEPffNS8_4plusIfEEEE10hipError_tPvRmT1_T2_T3_mT4_P12ihipStream_tbEUlT_E0_NS1_11comp_targetILNS1_3genE4ELNS1_11target_archE910ELNS1_3gpuE8ELNS1_3repE0EEENS1_30default_config_static_selectorELNS0_4arch9wavefront6targetE0EEEvSM_
                                        ; -- End function
	.set _ZN7rocprim17ROCPRIM_400000_NS6detail17trampoline_kernelINS0_14default_configENS1_22reduce_config_selectorIfEEZNS1_11reduce_implILb1ES3_N6thrust23THRUST_200600_302600_NS11hip_rocprim26transform_input_iterator_tIfNS8_17counting_iteratorIiNS8_11use_defaultESC_SC_EE11estimate_piEEPffNS8_4plusIfEEEE10hipError_tPvRmT1_T2_T3_mT4_P12ihipStream_tbEUlT_E0_NS1_11comp_targetILNS1_3genE4ELNS1_11target_archE910ELNS1_3gpuE8ELNS1_3repE0EEENS1_30default_config_static_selectorELNS0_4arch9wavefront6targetE0EEEvSM_.num_vgpr, 0
	.set _ZN7rocprim17ROCPRIM_400000_NS6detail17trampoline_kernelINS0_14default_configENS1_22reduce_config_selectorIfEEZNS1_11reduce_implILb1ES3_N6thrust23THRUST_200600_302600_NS11hip_rocprim26transform_input_iterator_tIfNS8_17counting_iteratorIiNS8_11use_defaultESC_SC_EE11estimate_piEEPffNS8_4plusIfEEEE10hipError_tPvRmT1_T2_T3_mT4_P12ihipStream_tbEUlT_E0_NS1_11comp_targetILNS1_3genE4ELNS1_11target_archE910ELNS1_3gpuE8ELNS1_3repE0EEENS1_30default_config_static_selectorELNS0_4arch9wavefront6targetE0EEEvSM_.num_agpr, 0
	.set _ZN7rocprim17ROCPRIM_400000_NS6detail17trampoline_kernelINS0_14default_configENS1_22reduce_config_selectorIfEEZNS1_11reduce_implILb1ES3_N6thrust23THRUST_200600_302600_NS11hip_rocprim26transform_input_iterator_tIfNS8_17counting_iteratorIiNS8_11use_defaultESC_SC_EE11estimate_piEEPffNS8_4plusIfEEEE10hipError_tPvRmT1_T2_T3_mT4_P12ihipStream_tbEUlT_E0_NS1_11comp_targetILNS1_3genE4ELNS1_11target_archE910ELNS1_3gpuE8ELNS1_3repE0EEENS1_30default_config_static_selectorELNS0_4arch9wavefront6targetE0EEEvSM_.numbered_sgpr, 0
	.set _ZN7rocprim17ROCPRIM_400000_NS6detail17trampoline_kernelINS0_14default_configENS1_22reduce_config_selectorIfEEZNS1_11reduce_implILb1ES3_N6thrust23THRUST_200600_302600_NS11hip_rocprim26transform_input_iterator_tIfNS8_17counting_iteratorIiNS8_11use_defaultESC_SC_EE11estimate_piEEPffNS8_4plusIfEEEE10hipError_tPvRmT1_T2_T3_mT4_P12ihipStream_tbEUlT_E0_NS1_11comp_targetILNS1_3genE4ELNS1_11target_archE910ELNS1_3gpuE8ELNS1_3repE0EEENS1_30default_config_static_selectorELNS0_4arch9wavefront6targetE0EEEvSM_.num_named_barrier, 0
	.set _ZN7rocprim17ROCPRIM_400000_NS6detail17trampoline_kernelINS0_14default_configENS1_22reduce_config_selectorIfEEZNS1_11reduce_implILb1ES3_N6thrust23THRUST_200600_302600_NS11hip_rocprim26transform_input_iterator_tIfNS8_17counting_iteratorIiNS8_11use_defaultESC_SC_EE11estimate_piEEPffNS8_4plusIfEEEE10hipError_tPvRmT1_T2_T3_mT4_P12ihipStream_tbEUlT_E0_NS1_11comp_targetILNS1_3genE4ELNS1_11target_archE910ELNS1_3gpuE8ELNS1_3repE0EEENS1_30default_config_static_selectorELNS0_4arch9wavefront6targetE0EEEvSM_.private_seg_size, 0
	.set _ZN7rocprim17ROCPRIM_400000_NS6detail17trampoline_kernelINS0_14default_configENS1_22reduce_config_selectorIfEEZNS1_11reduce_implILb1ES3_N6thrust23THRUST_200600_302600_NS11hip_rocprim26transform_input_iterator_tIfNS8_17counting_iteratorIiNS8_11use_defaultESC_SC_EE11estimate_piEEPffNS8_4plusIfEEEE10hipError_tPvRmT1_T2_T3_mT4_P12ihipStream_tbEUlT_E0_NS1_11comp_targetILNS1_3genE4ELNS1_11target_archE910ELNS1_3gpuE8ELNS1_3repE0EEENS1_30default_config_static_selectorELNS0_4arch9wavefront6targetE0EEEvSM_.uses_vcc, 0
	.set _ZN7rocprim17ROCPRIM_400000_NS6detail17trampoline_kernelINS0_14default_configENS1_22reduce_config_selectorIfEEZNS1_11reduce_implILb1ES3_N6thrust23THRUST_200600_302600_NS11hip_rocprim26transform_input_iterator_tIfNS8_17counting_iteratorIiNS8_11use_defaultESC_SC_EE11estimate_piEEPffNS8_4plusIfEEEE10hipError_tPvRmT1_T2_T3_mT4_P12ihipStream_tbEUlT_E0_NS1_11comp_targetILNS1_3genE4ELNS1_11target_archE910ELNS1_3gpuE8ELNS1_3repE0EEENS1_30default_config_static_selectorELNS0_4arch9wavefront6targetE0EEEvSM_.uses_flat_scratch, 0
	.set _ZN7rocprim17ROCPRIM_400000_NS6detail17trampoline_kernelINS0_14default_configENS1_22reduce_config_selectorIfEEZNS1_11reduce_implILb1ES3_N6thrust23THRUST_200600_302600_NS11hip_rocprim26transform_input_iterator_tIfNS8_17counting_iteratorIiNS8_11use_defaultESC_SC_EE11estimate_piEEPffNS8_4plusIfEEEE10hipError_tPvRmT1_T2_T3_mT4_P12ihipStream_tbEUlT_E0_NS1_11comp_targetILNS1_3genE4ELNS1_11target_archE910ELNS1_3gpuE8ELNS1_3repE0EEENS1_30default_config_static_selectorELNS0_4arch9wavefront6targetE0EEEvSM_.has_dyn_sized_stack, 0
	.set _ZN7rocprim17ROCPRIM_400000_NS6detail17trampoline_kernelINS0_14default_configENS1_22reduce_config_selectorIfEEZNS1_11reduce_implILb1ES3_N6thrust23THRUST_200600_302600_NS11hip_rocprim26transform_input_iterator_tIfNS8_17counting_iteratorIiNS8_11use_defaultESC_SC_EE11estimate_piEEPffNS8_4plusIfEEEE10hipError_tPvRmT1_T2_T3_mT4_P12ihipStream_tbEUlT_E0_NS1_11comp_targetILNS1_3genE4ELNS1_11target_archE910ELNS1_3gpuE8ELNS1_3repE0EEENS1_30default_config_static_selectorELNS0_4arch9wavefront6targetE0EEEvSM_.has_recursion, 0
	.set _ZN7rocprim17ROCPRIM_400000_NS6detail17trampoline_kernelINS0_14default_configENS1_22reduce_config_selectorIfEEZNS1_11reduce_implILb1ES3_N6thrust23THRUST_200600_302600_NS11hip_rocprim26transform_input_iterator_tIfNS8_17counting_iteratorIiNS8_11use_defaultESC_SC_EE11estimate_piEEPffNS8_4plusIfEEEE10hipError_tPvRmT1_T2_T3_mT4_P12ihipStream_tbEUlT_E0_NS1_11comp_targetILNS1_3genE4ELNS1_11target_archE910ELNS1_3gpuE8ELNS1_3repE0EEENS1_30default_config_static_selectorELNS0_4arch9wavefront6targetE0EEEvSM_.has_indirect_call, 0
	.section	.AMDGPU.csdata,"",@progbits
; Kernel info:
; codeLenInByte = 0
; TotalNumSgprs: 0
; NumVgprs: 0
; ScratchSize: 0
; MemoryBound: 0
; FloatMode: 240
; IeeeMode: 1
; LDSByteSize: 0 bytes/workgroup (compile time only)
; SGPRBlocks: 0
; VGPRBlocks: 0
; NumSGPRsForWavesPerEU: 1
; NumVGPRsForWavesPerEU: 1
; NamedBarCnt: 0
; Occupancy: 16
; WaveLimiterHint : 0
; COMPUTE_PGM_RSRC2:SCRATCH_EN: 0
; COMPUTE_PGM_RSRC2:USER_SGPR: 2
; COMPUTE_PGM_RSRC2:TRAP_HANDLER: 0
; COMPUTE_PGM_RSRC2:TGID_X_EN: 1
; COMPUTE_PGM_RSRC2:TGID_Y_EN: 0
; COMPUTE_PGM_RSRC2:TGID_Z_EN: 0
; COMPUTE_PGM_RSRC2:TIDIG_COMP_CNT: 0
	.section	.text._ZN7rocprim17ROCPRIM_400000_NS6detail17trampoline_kernelINS0_14default_configENS1_22reduce_config_selectorIfEEZNS1_11reduce_implILb1ES3_N6thrust23THRUST_200600_302600_NS11hip_rocprim26transform_input_iterator_tIfNS8_17counting_iteratorIiNS8_11use_defaultESC_SC_EE11estimate_piEEPffNS8_4plusIfEEEE10hipError_tPvRmT1_T2_T3_mT4_P12ihipStream_tbEUlT_E0_NS1_11comp_targetILNS1_3genE3ELNS1_11target_archE908ELNS1_3gpuE7ELNS1_3repE0EEENS1_30default_config_static_selectorELNS0_4arch9wavefront6targetE0EEEvSM_,"axG",@progbits,_ZN7rocprim17ROCPRIM_400000_NS6detail17trampoline_kernelINS0_14default_configENS1_22reduce_config_selectorIfEEZNS1_11reduce_implILb1ES3_N6thrust23THRUST_200600_302600_NS11hip_rocprim26transform_input_iterator_tIfNS8_17counting_iteratorIiNS8_11use_defaultESC_SC_EE11estimate_piEEPffNS8_4plusIfEEEE10hipError_tPvRmT1_T2_T3_mT4_P12ihipStream_tbEUlT_E0_NS1_11comp_targetILNS1_3genE3ELNS1_11target_archE908ELNS1_3gpuE7ELNS1_3repE0EEENS1_30default_config_static_selectorELNS0_4arch9wavefront6targetE0EEEvSM_,comdat
	.protected	_ZN7rocprim17ROCPRIM_400000_NS6detail17trampoline_kernelINS0_14default_configENS1_22reduce_config_selectorIfEEZNS1_11reduce_implILb1ES3_N6thrust23THRUST_200600_302600_NS11hip_rocprim26transform_input_iterator_tIfNS8_17counting_iteratorIiNS8_11use_defaultESC_SC_EE11estimate_piEEPffNS8_4plusIfEEEE10hipError_tPvRmT1_T2_T3_mT4_P12ihipStream_tbEUlT_E0_NS1_11comp_targetILNS1_3genE3ELNS1_11target_archE908ELNS1_3gpuE7ELNS1_3repE0EEENS1_30default_config_static_selectorELNS0_4arch9wavefront6targetE0EEEvSM_ ; -- Begin function _ZN7rocprim17ROCPRIM_400000_NS6detail17trampoline_kernelINS0_14default_configENS1_22reduce_config_selectorIfEEZNS1_11reduce_implILb1ES3_N6thrust23THRUST_200600_302600_NS11hip_rocprim26transform_input_iterator_tIfNS8_17counting_iteratorIiNS8_11use_defaultESC_SC_EE11estimate_piEEPffNS8_4plusIfEEEE10hipError_tPvRmT1_T2_T3_mT4_P12ihipStream_tbEUlT_E0_NS1_11comp_targetILNS1_3genE3ELNS1_11target_archE908ELNS1_3gpuE7ELNS1_3repE0EEENS1_30default_config_static_selectorELNS0_4arch9wavefront6targetE0EEEvSM_
	.globl	_ZN7rocprim17ROCPRIM_400000_NS6detail17trampoline_kernelINS0_14default_configENS1_22reduce_config_selectorIfEEZNS1_11reduce_implILb1ES3_N6thrust23THRUST_200600_302600_NS11hip_rocprim26transform_input_iterator_tIfNS8_17counting_iteratorIiNS8_11use_defaultESC_SC_EE11estimate_piEEPffNS8_4plusIfEEEE10hipError_tPvRmT1_T2_T3_mT4_P12ihipStream_tbEUlT_E0_NS1_11comp_targetILNS1_3genE3ELNS1_11target_archE908ELNS1_3gpuE7ELNS1_3repE0EEENS1_30default_config_static_selectorELNS0_4arch9wavefront6targetE0EEEvSM_
	.p2align	8
	.type	_ZN7rocprim17ROCPRIM_400000_NS6detail17trampoline_kernelINS0_14default_configENS1_22reduce_config_selectorIfEEZNS1_11reduce_implILb1ES3_N6thrust23THRUST_200600_302600_NS11hip_rocprim26transform_input_iterator_tIfNS8_17counting_iteratorIiNS8_11use_defaultESC_SC_EE11estimate_piEEPffNS8_4plusIfEEEE10hipError_tPvRmT1_T2_T3_mT4_P12ihipStream_tbEUlT_E0_NS1_11comp_targetILNS1_3genE3ELNS1_11target_archE908ELNS1_3gpuE7ELNS1_3repE0EEENS1_30default_config_static_selectorELNS0_4arch9wavefront6targetE0EEEvSM_,@function
_ZN7rocprim17ROCPRIM_400000_NS6detail17trampoline_kernelINS0_14default_configENS1_22reduce_config_selectorIfEEZNS1_11reduce_implILb1ES3_N6thrust23THRUST_200600_302600_NS11hip_rocprim26transform_input_iterator_tIfNS8_17counting_iteratorIiNS8_11use_defaultESC_SC_EE11estimate_piEEPffNS8_4plusIfEEEE10hipError_tPvRmT1_T2_T3_mT4_P12ihipStream_tbEUlT_E0_NS1_11comp_targetILNS1_3genE3ELNS1_11target_archE908ELNS1_3gpuE7ELNS1_3repE0EEENS1_30default_config_static_selectorELNS0_4arch9wavefront6targetE0EEEvSM_: ; @_ZN7rocprim17ROCPRIM_400000_NS6detail17trampoline_kernelINS0_14default_configENS1_22reduce_config_selectorIfEEZNS1_11reduce_implILb1ES3_N6thrust23THRUST_200600_302600_NS11hip_rocprim26transform_input_iterator_tIfNS8_17counting_iteratorIiNS8_11use_defaultESC_SC_EE11estimate_piEEPffNS8_4plusIfEEEE10hipError_tPvRmT1_T2_T3_mT4_P12ihipStream_tbEUlT_E0_NS1_11comp_targetILNS1_3genE3ELNS1_11target_archE908ELNS1_3gpuE7ELNS1_3repE0EEENS1_30default_config_static_selectorELNS0_4arch9wavefront6targetE0EEEvSM_
; %bb.0:
	.section	.rodata,"a",@progbits
	.p2align	6, 0x0
	.amdhsa_kernel _ZN7rocprim17ROCPRIM_400000_NS6detail17trampoline_kernelINS0_14default_configENS1_22reduce_config_selectorIfEEZNS1_11reduce_implILb1ES3_N6thrust23THRUST_200600_302600_NS11hip_rocprim26transform_input_iterator_tIfNS8_17counting_iteratorIiNS8_11use_defaultESC_SC_EE11estimate_piEEPffNS8_4plusIfEEEE10hipError_tPvRmT1_T2_T3_mT4_P12ihipStream_tbEUlT_E0_NS1_11comp_targetILNS1_3genE3ELNS1_11target_archE908ELNS1_3gpuE7ELNS1_3repE0EEENS1_30default_config_static_selectorELNS0_4arch9wavefront6targetE0EEEvSM_
		.amdhsa_group_segment_fixed_size 0
		.amdhsa_private_segment_fixed_size 0
		.amdhsa_kernarg_size 56
		.amdhsa_user_sgpr_count 2
		.amdhsa_user_sgpr_dispatch_ptr 0
		.amdhsa_user_sgpr_queue_ptr 0
		.amdhsa_user_sgpr_kernarg_segment_ptr 1
		.amdhsa_user_sgpr_dispatch_id 0
		.amdhsa_user_sgpr_kernarg_preload_length 0
		.amdhsa_user_sgpr_kernarg_preload_offset 0
		.amdhsa_user_sgpr_private_segment_size 0
		.amdhsa_wavefront_size32 1
		.amdhsa_uses_dynamic_stack 0
		.amdhsa_enable_private_segment 0
		.amdhsa_system_sgpr_workgroup_id_x 1
		.amdhsa_system_sgpr_workgroup_id_y 0
		.amdhsa_system_sgpr_workgroup_id_z 0
		.amdhsa_system_sgpr_workgroup_info 0
		.amdhsa_system_vgpr_workitem_id 0
		.amdhsa_next_free_vgpr 1
		.amdhsa_next_free_sgpr 1
		.amdhsa_named_barrier_count 0
		.amdhsa_reserve_vcc 0
		.amdhsa_float_round_mode_32 0
		.amdhsa_float_round_mode_16_64 0
		.amdhsa_float_denorm_mode_32 3
		.amdhsa_float_denorm_mode_16_64 3
		.amdhsa_fp16_overflow 0
		.amdhsa_memory_ordered 1
		.amdhsa_forward_progress 1
		.amdhsa_inst_pref_size 0
		.amdhsa_round_robin_scheduling 0
		.amdhsa_exception_fp_ieee_invalid_op 0
		.amdhsa_exception_fp_denorm_src 0
		.amdhsa_exception_fp_ieee_div_zero 0
		.amdhsa_exception_fp_ieee_overflow 0
		.amdhsa_exception_fp_ieee_underflow 0
		.amdhsa_exception_fp_ieee_inexact 0
		.amdhsa_exception_int_div_zero 0
	.end_amdhsa_kernel
	.section	.text._ZN7rocprim17ROCPRIM_400000_NS6detail17trampoline_kernelINS0_14default_configENS1_22reduce_config_selectorIfEEZNS1_11reduce_implILb1ES3_N6thrust23THRUST_200600_302600_NS11hip_rocprim26transform_input_iterator_tIfNS8_17counting_iteratorIiNS8_11use_defaultESC_SC_EE11estimate_piEEPffNS8_4plusIfEEEE10hipError_tPvRmT1_T2_T3_mT4_P12ihipStream_tbEUlT_E0_NS1_11comp_targetILNS1_3genE3ELNS1_11target_archE908ELNS1_3gpuE7ELNS1_3repE0EEENS1_30default_config_static_selectorELNS0_4arch9wavefront6targetE0EEEvSM_,"axG",@progbits,_ZN7rocprim17ROCPRIM_400000_NS6detail17trampoline_kernelINS0_14default_configENS1_22reduce_config_selectorIfEEZNS1_11reduce_implILb1ES3_N6thrust23THRUST_200600_302600_NS11hip_rocprim26transform_input_iterator_tIfNS8_17counting_iteratorIiNS8_11use_defaultESC_SC_EE11estimate_piEEPffNS8_4plusIfEEEE10hipError_tPvRmT1_T2_T3_mT4_P12ihipStream_tbEUlT_E0_NS1_11comp_targetILNS1_3genE3ELNS1_11target_archE908ELNS1_3gpuE7ELNS1_3repE0EEENS1_30default_config_static_selectorELNS0_4arch9wavefront6targetE0EEEvSM_,comdat
.Lfunc_end21:
	.size	_ZN7rocprim17ROCPRIM_400000_NS6detail17trampoline_kernelINS0_14default_configENS1_22reduce_config_selectorIfEEZNS1_11reduce_implILb1ES3_N6thrust23THRUST_200600_302600_NS11hip_rocprim26transform_input_iterator_tIfNS8_17counting_iteratorIiNS8_11use_defaultESC_SC_EE11estimate_piEEPffNS8_4plusIfEEEE10hipError_tPvRmT1_T2_T3_mT4_P12ihipStream_tbEUlT_E0_NS1_11comp_targetILNS1_3genE3ELNS1_11target_archE908ELNS1_3gpuE7ELNS1_3repE0EEENS1_30default_config_static_selectorELNS0_4arch9wavefront6targetE0EEEvSM_, .Lfunc_end21-_ZN7rocprim17ROCPRIM_400000_NS6detail17trampoline_kernelINS0_14default_configENS1_22reduce_config_selectorIfEEZNS1_11reduce_implILb1ES3_N6thrust23THRUST_200600_302600_NS11hip_rocprim26transform_input_iterator_tIfNS8_17counting_iteratorIiNS8_11use_defaultESC_SC_EE11estimate_piEEPffNS8_4plusIfEEEE10hipError_tPvRmT1_T2_T3_mT4_P12ihipStream_tbEUlT_E0_NS1_11comp_targetILNS1_3genE3ELNS1_11target_archE908ELNS1_3gpuE7ELNS1_3repE0EEENS1_30default_config_static_selectorELNS0_4arch9wavefront6targetE0EEEvSM_
                                        ; -- End function
	.set _ZN7rocprim17ROCPRIM_400000_NS6detail17trampoline_kernelINS0_14default_configENS1_22reduce_config_selectorIfEEZNS1_11reduce_implILb1ES3_N6thrust23THRUST_200600_302600_NS11hip_rocprim26transform_input_iterator_tIfNS8_17counting_iteratorIiNS8_11use_defaultESC_SC_EE11estimate_piEEPffNS8_4plusIfEEEE10hipError_tPvRmT1_T2_T3_mT4_P12ihipStream_tbEUlT_E0_NS1_11comp_targetILNS1_3genE3ELNS1_11target_archE908ELNS1_3gpuE7ELNS1_3repE0EEENS1_30default_config_static_selectorELNS0_4arch9wavefront6targetE0EEEvSM_.num_vgpr, 0
	.set _ZN7rocprim17ROCPRIM_400000_NS6detail17trampoline_kernelINS0_14default_configENS1_22reduce_config_selectorIfEEZNS1_11reduce_implILb1ES3_N6thrust23THRUST_200600_302600_NS11hip_rocprim26transform_input_iterator_tIfNS8_17counting_iteratorIiNS8_11use_defaultESC_SC_EE11estimate_piEEPffNS8_4plusIfEEEE10hipError_tPvRmT1_T2_T3_mT4_P12ihipStream_tbEUlT_E0_NS1_11comp_targetILNS1_3genE3ELNS1_11target_archE908ELNS1_3gpuE7ELNS1_3repE0EEENS1_30default_config_static_selectorELNS0_4arch9wavefront6targetE0EEEvSM_.num_agpr, 0
	.set _ZN7rocprim17ROCPRIM_400000_NS6detail17trampoline_kernelINS0_14default_configENS1_22reduce_config_selectorIfEEZNS1_11reduce_implILb1ES3_N6thrust23THRUST_200600_302600_NS11hip_rocprim26transform_input_iterator_tIfNS8_17counting_iteratorIiNS8_11use_defaultESC_SC_EE11estimate_piEEPffNS8_4plusIfEEEE10hipError_tPvRmT1_T2_T3_mT4_P12ihipStream_tbEUlT_E0_NS1_11comp_targetILNS1_3genE3ELNS1_11target_archE908ELNS1_3gpuE7ELNS1_3repE0EEENS1_30default_config_static_selectorELNS0_4arch9wavefront6targetE0EEEvSM_.numbered_sgpr, 0
	.set _ZN7rocprim17ROCPRIM_400000_NS6detail17trampoline_kernelINS0_14default_configENS1_22reduce_config_selectorIfEEZNS1_11reduce_implILb1ES3_N6thrust23THRUST_200600_302600_NS11hip_rocprim26transform_input_iterator_tIfNS8_17counting_iteratorIiNS8_11use_defaultESC_SC_EE11estimate_piEEPffNS8_4plusIfEEEE10hipError_tPvRmT1_T2_T3_mT4_P12ihipStream_tbEUlT_E0_NS1_11comp_targetILNS1_3genE3ELNS1_11target_archE908ELNS1_3gpuE7ELNS1_3repE0EEENS1_30default_config_static_selectorELNS0_4arch9wavefront6targetE0EEEvSM_.num_named_barrier, 0
	.set _ZN7rocprim17ROCPRIM_400000_NS6detail17trampoline_kernelINS0_14default_configENS1_22reduce_config_selectorIfEEZNS1_11reduce_implILb1ES3_N6thrust23THRUST_200600_302600_NS11hip_rocprim26transform_input_iterator_tIfNS8_17counting_iteratorIiNS8_11use_defaultESC_SC_EE11estimate_piEEPffNS8_4plusIfEEEE10hipError_tPvRmT1_T2_T3_mT4_P12ihipStream_tbEUlT_E0_NS1_11comp_targetILNS1_3genE3ELNS1_11target_archE908ELNS1_3gpuE7ELNS1_3repE0EEENS1_30default_config_static_selectorELNS0_4arch9wavefront6targetE0EEEvSM_.private_seg_size, 0
	.set _ZN7rocprim17ROCPRIM_400000_NS6detail17trampoline_kernelINS0_14default_configENS1_22reduce_config_selectorIfEEZNS1_11reduce_implILb1ES3_N6thrust23THRUST_200600_302600_NS11hip_rocprim26transform_input_iterator_tIfNS8_17counting_iteratorIiNS8_11use_defaultESC_SC_EE11estimate_piEEPffNS8_4plusIfEEEE10hipError_tPvRmT1_T2_T3_mT4_P12ihipStream_tbEUlT_E0_NS1_11comp_targetILNS1_3genE3ELNS1_11target_archE908ELNS1_3gpuE7ELNS1_3repE0EEENS1_30default_config_static_selectorELNS0_4arch9wavefront6targetE0EEEvSM_.uses_vcc, 0
	.set _ZN7rocprim17ROCPRIM_400000_NS6detail17trampoline_kernelINS0_14default_configENS1_22reduce_config_selectorIfEEZNS1_11reduce_implILb1ES3_N6thrust23THRUST_200600_302600_NS11hip_rocprim26transform_input_iterator_tIfNS8_17counting_iteratorIiNS8_11use_defaultESC_SC_EE11estimate_piEEPffNS8_4plusIfEEEE10hipError_tPvRmT1_T2_T3_mT4_P12ihipStream_tbEUlT_E0_NS1_11comp_targetILNS1_3genE3ELNS1_11target_archE908ELNS1_3gpuE7ELNS1_3repE0EEENS1_30default_config_static_selectorELNS0_4arch9wavefront6targetE0EEEvSM_.uses_flat_scratch, 0
	.set _ZN7rocprim17ROCPRIM_400000_NS6detail17trampoline_kernelINS0_14default_configENS1_22reduce_config_selectorIfEEZNS1_11reduce_implILb1ES3_N6thrust23THRUST_200600_302600_NS11hip_rocprim26transform_input_iterator_tIfNS8_17counting_iteratorIiNS8_11use_defaultESC_SC_EE11estimate_piEEPffNS8_4plusIfEEEE10hipError_tPvRmT1_T2_T3_mT4_P12ihipStream_tbEUlT_E0_NS1_11comp_targetILNS1_3genE3ELNS1_11target_archE908ELNS1_3gpuE7ELNS1_3repE0EEENS1_30default_config_static_selectorELNS0_4arch9wavefront6targetE0EEEvSM_.has_dyn_sized_stack, 0
	.set _ZN7rocprim17ROCPRIM_400000_NS6detail17trampoline_kernelINS0_14default_configENS1_22reduce_config_selectorIfEEZNS1_11reduce_implILb1ES3_N6thrust23THRUST_200600_302600_NS11hip_rocprim26transform_input_iterator_tIfNS8_17counting_iteratorIiNS8_11use_defaultESC_SC_EE11estimate_piEEPffNS8_4plusIfEEEE10hipError_tPvRmT1_T2_T3_mT4_P12ihipStream_tbEUlT_E0_NS1_11comp_targetILNS1_3genE3ELNS1_11target_archE908ELNS1_3gpuE7ELNS1_3repE0EEENS1_30default_config_static_selectorELNS0_4arch9wavefront6targetE0EEEvSM_.has_recursion, 0
	.set _ZN7rocprim17ROCPRIM_400000_NS6detail17trampoline_kernelINS0_14default_configENS1_22reduce_config_selectorIfEEZNS1_11reduce_implILb1ES3_N6thrust23THRUST_200600_302600_NS11hip_rocprim26transform_input_iterator_tIfNS8_17counting_iteratorIiNS8_11use_defaultESC_SC_EE11estimate_piEEPffNS8_4plusIfEEEE10hipError_tPvRmT1_T2_T3_mT4_P12ihipStream_tbEUlT_E0_NS1_11comp_targetILNS1_3genE3ELNS1_11target_archE908ELNS1_3gpuE7ELNS1_3repE0EEENS1_30default_config_static_selectorELNS0_4arch9wavefront6targetE0EEEvSM_.has_indirect_call, 0
	.section	.AMDGPU.csdata,"",@progbits
; Kernel info:
; codeLenInByte = 0
; TotalNumSgprs: 0
; NumVgprs: 0
; ScratchSize: 0
; MemoryBound: 0
; FloatMode: 240
; IeeeMode: 1
; LDSByteSize: 0 bytes/workgroup (compile time only)
; SGPRBlocks: 0
; VGPRBlocks: 0
; NumSGPRsForWavesPerEU: 1
; NumVGPRsForWavesPerEU: 1
; NamedBarCnt: 0
; Occupancy: 16
; WaveLimiterHint : 0
; COMPUTE_PGM_RSRC2:SCRATCH_EN: 0
; COMPUTE_PGM_RSRC2:USER_SGPR: 2
; COMPUTE_PGM_RSRC2:TRAP_HANDLER: 0
; COMPUTE_PGM_RSRC2:TGID_X_EN: 1
; COMPUTE_PGM_RSRC2:TGID_Y_EN: 0
; COMPUTE_PGM_RSRC2:TGID_Z_EN: 0
; COMPUTE_PGM_RSRC2:TIDIG_COMP_CNT: 0
	.section	.text._ZN7rocprim17ROCPRIM_400000_NS6detail17trampoline_kernelINS0_14default_configENS1_22reduce_config_selectorIfEEZNS1_11reduce_implILb1ES3_N6thrust23THRUST_200600_302600_NS11hip_rocprim26transform_input_iterator_tIfNS8_17counting_iteratorIiNS8_11use_defaultESC_SC_EE11estimate_piEEPffNS8_4plusIfEEEE10hipError_tPvRmT1_T2_T3_mT4_P12ihipStream_tbEUlT_E0_NS1_11comp_targetILNS1_3genE2ELNS1_11target_archE906ELNS1_3gpuE6ELNS1_3repE0EEENS1_30default_config_static_selectorELNS0_4arch9wavefront6targetE0EEEvSM_,"axG",@progbits,_ZN7rocprim17ROCPRIM_400000_NS6detail17trampoline_kernelINS0_14default_configENS1_22reduce_config_selectorIfEEZNS1_11reduce_implILb1ES3_N6thrust23THRUST_200600_302600_NS11hip_rocprim26transform_input_iterator_tIfNS8_17counting_iteratorIiNS8_11use_defaultESC_SC_EE11estimate_piEEPffNS8_4plusIfEEEE10hipError_tPvRmT1_T2_T3_mT4_P12ihipStream_tbEUlT_E0_NS1_11comp_targetILNS1_3genE2ELNS1_11target_archE906ELNS1_3gpuE6ELNS1_3repE0EEENS1_30default_config_static_selectorELNS0_4arch9wavefront6targetE0EEEvSM_,comdat
	.protected	_ZN7rocprim17ROCPRIM_400000_NS6detail17trampoline_kernelINS0_14default_configENS1_22reduce_config_selectorIfEEZNS1_11reduce_implILb1ES3_N6thrust23THRUST_200600_302600_NS11hip_rocprim26transform_input_iterator_tIfNS8_17counting_iteratorIiNS8_11use_defaultESC_SC_EE11estimate_piEEPffNS8_4plusIfEEEE10hipError_tPvRmT1_T2_T3_mT4_P12ihipStream_tbEUlT_E0_NS1_11comp_targetILNS1_3genE2ELNS1_11target_archE906ELNS1_3gpuE6ELNS1_3repE0EEENS1_30default_config_static_selectorELNS0_4arch9wavefront6targetE0EEEvSM_ ; -- Begin function _ZN7rocprim17ROCPRIM_400000_NS6detail17trampoline_kernelINS0_14default_configENS1_22reduce_config_selectorIfEEZNS1_11reduce_implILb1ES3_N6thrust23THRUST_200600_302600_NS11hip_rocprim26transform_input_iterator_tIfNS8_17counting_iteratorIiNS8_11use_defaultESC_SC_EE11estimate_piEEPffNS8_4plusIfEEEE10hipError_tPvRmT1_T2_T3_mT4_P12ihipStream_tbEUlT_E0_NS1_11comp_targetILNS1_3genE2ELNS1_11target_archE906ELNS1_3gpuE6ELNS1_3repE0EEENS1_30default_config_static_selectorELNS0_4arch9wavefront6targetE0EEEvSM_
	.globl	_ZN7rocprim17ROCPRIM_400000_NS6detail17trampoline_kernelINS0_14default_configENS1_22reduce_config_selectorIfEEZNS1_11reduce_implILb1ES3_N6thrust23THRUST_200600_302600_NS11hip_rocprim26transform_input_iterator_tIfNS8_17counting_iteratorIiNS8_11use_defaultESC_SC_EE11estimate_piEEPffNS8_4plusIfEEEE10hipError_tPvRmT1_T2_T3_mT4_P12ihipStream_tbEUlT_E0_NS1_11comp_targetILNS1_3genE2ELNS1_11target_archE906ELNS1_3gpuE6ELNS1_3repE0EEENS1_30default_config_static_selectorELNS0_4arch9wavefront6targetE0EEEvSM_
	.p2align	8
	.type	_ZN7rocprim17ROCPRIM_400000_NS6detail17trampoline_kernelINS0_14default_configENS1_22reduce_config_selectorIfEEZNS1_11reduce_implILb1ES3_N6thrust23THRUST_200600_302600_NS11hip_rocprim26transform_input_iterator_tIfNS8_17counting_iteratorIiNS8_11use_defaultESC_SC_EE11estimate_piEEPffNS8_4plusIfEEEE10hipError_tPvRmT1_T2_T3_mT4_P12ihipStream_tbEUlT_E0_NS1_11comp_targetILNS1_3genE2ELNS1_11target_archE906ELNS1_3gpuE6ELNS1_3repE0EEENS1_30default_config_static_selectorELNS0_4arch9wavefront6targetE0EEEvSM_,@function
_ZN7rocprim17ROCPRIM_400000_NS6detail17trampoline_kernelINS0_14default_configENS1_22reduce_config_selectorIfEEZNS1_11reduce_implILb1ES3_N6thrust23THRUST_200600_302600_NS11hip_rocprim26transform_input_iterator_tIfNS8_17counting_iteratorIiNS8_11use_defaultESC_SC_EE11estimate_piEEPffNS8_4plusIfEEEE10hipError_tPvRmT1_T2_T3_mT4_P12ihipStream_tbEUlT_E0_NS1_11comp_targetILNS1_3genE2ELNS1_11target_archE906ELNS1_3gpuE6ELNS1_3repE0EEENS1_30default_config_static_selectorELNS0_4arch9wavefront6targetE0EEEvSM_: ; @_ZN7rocprim17ROCPRIM_400000_NS6detail17trampoline_kernelINS0_14default_configENS1_22reduce_config_selectorIfEEZNS1_11reduce_implILb1ES3_N6thrust23THRUST_200600_302600_NS11hip_rocprim26transform_input_iterator_tIfNS8_17counting_iteratorIiNS8_11use_defaultESC_SC_EE11estimate_piEEPffNS8_4plusIfEEEE10hipError_tPvRmT1_T2_T3_mT4_P12ihipStream_tbEUlT_E0_NS1_11comp_targetILNS1_3genE2ELNS1_11target_archE906ELNS1_3gpuE6ELNS1_3repE0EEENS1_30default_config_static_selectorELNS0_4arch9wavefront6targetE0EEEvSM_
; %bb.0:
	.section	.rodata,"a",@progbits
	.p2align	6, 0x0
	.amdhsa_kernel _ZN7rocprim17ROCPRIM_400000_NS6detail17trampoline_kernelINS0_14default_configENS1_22reduce_config_selectorIfEEZNS1_11reduce_implILb1ES3_N6thrust23THRUST_200600_302600_NS11hip_rocprim26transform_input_iterator_tIfNS8_17counting_iteratorIiNS8_11use_defaultESC_SC_EE11estimate_piEEPffNS8_4plusIfEEEE10hipError_tPvRmT1_T2_T3_mT4_P12ihipStream_tbEUlT_E0_NS1_11comp_targetILNS1_3genE2ELNS1_11target_archE906ELNS1_3gpuE6ELNS1_3repE0EEENS1_30default_config_static_selectorELNS0_4arch9wavefront6targetE0EEEvSM_
		.amdhsa_group_segment_fixed_size 0
		.amdhsa_private_segment_fixed_size 0
		.amdhsa_kernarg_size 56
		.amdhsa_user_sgpr_count 2
		.amdhsa_user_sgpr_dispatch_ptr 0
		.amdhsa_user_sgpr_queue_ptr 0
		.amdhsa_user_sgpr_kernarg_segment_ptr 1
		.amdhsa_user_sgpr_dispatch_id 0
		.amdhsa_user_sgpr_kernarg_preload_length 0
		.amdhsa_user_sgpr_kernarg_preload_offset 0
		.amdhsa_user_sgpr_private_segment_size 0
		.amdhsa_wavefront_size32 1
		.amdhsa_uses_dynamic_stack 0
		.amdhsa_enable_private_segment 0
		.amdhsa_system_sgpr_workgroup_id_x 1
		.amdhsa_system_sgpr_workgroup_id_y 0
		.amdhsa_system_sgpr_workgroup_id_z 0
		.amdhsa_system_sgpr_workgroup_info 0
		.amdhsa_system_vgpr_workitem_id 0
		.amdhsa_next_free_vgpr 1
		.amdhsa_next_free_sgpr 1
		.amdhsa_named_barrier_count 0
		.amdhsa_reserve_vcc 0
		.amdhsa_float_round_mode_32 0
		.amdhsa_float_round_mode_16_64 0
		.amdhsa_float_denorm_mode_32 3
		.amdhsa_float_denorm_mode_16_64 3
		.amdhsa_fp16_overflow 0
		.amdhsa_memory_ordered 1
		.amdhsa_forward_progress 1
		.amdhsa_inst_pref_size 0
		.amdhsa_round_robin_scheduling 0
		.amdhsa_exception_fp_ieee_invalid_op 0
		.amdhsa_exception_fp_denorm_src 0
		.amdhsa_exception_fp_ieee_div_zero 0
		.amdhsa_exception_fp_ieee_overflow 0
		.amdhsa_exception_fp_ieee_underflow 0
		.amdhsa_exception_fp_ieee_inexact 0
		.amdhsa_exception_int_div_zero 0
	.end_amdhsa_kernel
	.section	.text._ZN7rocprim17ROCPRIM_400000_NS6detail17trampoline_kernelINS0_14default_configENS1_22reduce_config_selectorIfEEZNS1_11reduce_implILb1ES3_N6thrust23THRUST_200600_302600_NS11hip_rocprim26transform_input_iterator_tIfNS8_17counting_iteratorIiNS8_11use_defaultESC_SC_EE11estimate_piEEPffNS8_4plusIfEEEE10hipError_tPvRmT1_T2_T3_mT4_P12ihipStream_tbEUlT_E0_NS1_11comp_targetILNS1_3genE2ELNS1_11target_archE906ELNS1_3gpuE6ELNS1_3repE0EEENS1_30default_config_static_selectorELNS0_4arch9wavefront6targetE0EEEvSM_,"axG",@progbits,_ZN7rocprim17ROCPRIM_400000_NS6detail17trampoline_kernelINS0_14default_configENS1_22reduce_config_selectorIfEEZNS1_11reduce_implILb1ES3_N6thrust23THRUST_200600_302600_NS11hip_rocprim26transform_input_iterator_tIfNS8_17counting_iteratorIiNS8_11use_defaultESC_SC_EE11estimate_piEEPffNS8_4plusIfEEEE10hipError_tPvRmT1_T2_T3_mT4_P12ihipStream_tbEUlT_E0_NS1_11comp_targetILNS1_3genE2ELNS1_11target_archE906ELNS1_3gpuE6ELNS1_3repE0EEENS1_30default_config_static_selectorELNS0_4arch9wavefront6targetE0EEEvSM_,comdat
.Lfunc_end22:
	.size	_ZN7rocprim17ROCPRIM_400000_NS6detail17trampoline_kernelINS0_14default_configENS1_22reduce_config_selectorIfEEZNS1_11reduce_implILb1ES3_N6thrust23THRUST_200600_302600_NS11hip_rocprim26transform_input_iterator_tIfNS8_17counting_iteratorIiNS8_11use_defaultESC_SC_EE11estimate_piEEPffNS8_4plusIfEEEE10hipError_tPvRmT1_T2_T3_mT4_P12ihipStream_tbEUlT_E0_NS1_11comp_targetILNS1_3genE2ELNS1_11target_archE906ELNS1_3gpuE6ELNS1_3repE0EEENS1_30default_config_static_selectorELNS0_4arch9wavefront6targetE0EEEvSM_, .Lfunc_end22-_ZN7rocprim17ROCPRIM_400000_NS6detail17trampoline_kernelINS0_14default_configENS1_22reduce_config_selectorIfEEZNS1_11reduce_implILb1ES3_N6thrust23THRUST_200600_302600_NS11hip_rocprim26transform_input_iterator_tIfNS8_17counting_iteratorIiNS8_11use_defaultESC_SC_EE11estimate_piEEPffNS8_4plusIfEEEE10hipError_tPvRmT1_T2_T3_mT4_P12ihipStream_tbEUlT_E0_NS1_11comp_targetILNS1_3genE2ELNS1_11target_archE906ELNS1_3gpuE6ELNS1_3repE0EEENS1_30default_config_static_selectorELNS0_4arch9wavefront6targetE0EEEvSM_
                                        ; -- End function
	.set _ZN7rocprim17ROCPRIM_400000_NS6detail17trampoline_kernelINS0_14default_configENS1_22reduce_config_selectorIfEEZNS1_11reduce_implILb1ES3_N6thrust23THRUST_200600_302600_NS11hip_rocprim26transform_input_iterator_tIfNS8_17counting_iteratorIiNS8_11use_defaultESC_SC_EE11estimate_piEEPffNS8_4plusIfEEEE10hipError_tPvRmT1_T2_T3_mT4_P12ihipStream_tbEUlT_E0_NS1_11comp_targetILNS1_3genE2ELNS1_11target_archE906ELNS1_3gpuE6ELNS1_3repE0EEENS1_30default_config_static_selectorELNS0_4arch9wavefront6targetE0EEEvSM_.num_vgpr, 0
	.set _ZN7rocprim17ROCPRIM_400000_NS6detail17trampoline_kernelINS0_14default_configENS1_22reduce_config_selectorIfEEZNS1_11reduce_implILb1ES3_N6thrust23THRUST_200600_302600_NS11hip_rocprim26transform_input_iterator_tIfNS8_17counting_iteratorIiNS8_11use_defaultESC_SC_EE11estimate_piEEPffNS8_4plusIfEEEE10hipError_tPvRmT1_T2_T3_mT4_P12ihipStream_tbEUlT_E0_NS1_11comp_targetILNS1_3genE2ELNS1_11target_archE906ELNS1_3gpuE6ELNS1_3repE0EEENS1_30default_config_static_selectorELNS0_4arch9wavefront6targetE0EEEvSM_.num_agpr, 0
	.set _ZN7rocprim17ROCPRIM_400000_NS6detail17trampoline_kernelINS0_14default_configENS1_22reduce_config_selectorIfEEZNS1_11reduce_implILb1ES3_N6thrust23THRUST_200600_302600_NS11hip_rocprim26transform_input_iterator_tIfNS8_17counting_iteratorIiNS8_11use_defaultESC_SC_EE11estimate_piEEPffNS8_4plusIfEEEE10hipError_tPvRmT1_T2_T3_mT4_P12ihipStream_tbEUlT_E0_NS1_11comp_targetILNS1_3genE2ELNS1_11target_archE906ELNS1_3gpuE6ELNS1_3repE0EEENS1_30default_config_static_selectorELNS0_4arch9wavefront6targetE0EEEvSM_.numbered_sgpr, 0
	.set _ZN7rocprim17ROCPRIM_400000_NS6detail17trampoline_kernelINS0_14default_configENS1_22reduce_config_selectorIfEEZNS1_11reduce_implILb1ES3_N6thrust23THRUST_200600_302600_NS11hip_rocprim26transform_input_iterator_tIfNS8_17counting_iteratorIiNS8_11use_defaultESC_SC_EE11estimate_piEEPffNS8_4plusIfEEEE10hipError_tPvRmT1_T2_T3_mT4_P12ihipStream_tbEUlT_E0_NS1_11comp_targetILNS1_3genE2ELNS1_11target_archE906ELNS1_3gpuE6ELNS1_3repE0EEENS1_30default_config_static_selectorELNS0_4arch9wavefront6targetE0EEEvSM_.num_named_barrier, 0
	.set _ZN7rocprim17ROCPRIM_400000_NS6detail17trampoline_kernelINS0_14default_configENS1_22reduce_config_selectorIfEEZNS1_11reduce_implILb1ES3_N6thrust23THRUST_200600_302600_NS11hip_rocprim26transform_input_iterator_tIfNS8_17counting_iteratorIiNS8_11use_defaultESC_SC_EE11estimate_piEEPffNS8_4plusIfEEEE10hipError_tPvRmT1_T2_T3_mT4_P12ihipStream_tbEUlT_E0_NS1_11comp_targetILNS1_3genE2ELNS1_11target_archE906ELNS1_3gpuE6ELNS1_3repE0EEENS1_30default_config_static_selectorELNS0_4arch9wavefront6targetE0EEEvSM_.private_seg_size, 0
	.set _ZN7rocprim17ROCPRIM_400000_NS6detail17trampoline_kernelINS0_14default_configENS1_22reduce_config_selectorIfEEZNS1_11reduce_implILb1ES3_N6thrust23THRUST_200600_302600_NS11hip_rocprim26transform_input_iterator_tIfNS8_17counting_iteratorIiNS8_11use_defaultESC_SC_EE11estimate_piEEPffNS8_4plusIfEEEE10hipError_tPvRmT1_T2_T3_mT4_P12ihipStream_tbEUlT_E0_NS1_11comp_targetILNS1_3genE2ELNS1_11target_archE906ELNS1_3gpuE6ELNS1_3repE0EEENS1_30default_config_static_selectorELNS0_4arch9wavefront6targetE0EEEvSM_.uses_vcc, 0
	.set _ZN7rocprim17ROCPRIM_400000_NS6detail17trampoline_kernelINS0_14default_configENS1_22reduce_config_selectorIfEEZNS1_11reduce_implILb1ES3_N6thrust23THRUST_200600_302600_NS11hip_rocprim26transform_input_iterator_tIfNS8_17counting_iteratorIiNS8_11use_defaultESC_SC_EE11estimate_piEEPffNS8_4plusIfEEEE10hipError_tPvRmT1_T2_T3_mT4_P12ihipStream_tbEUlT_E0_NS1_11comp_targetILNS1_3genE2ELNS1_11target_archE906ELNS1_3gpuE6ELNS1_3repE0EEENS1_30default_config_static_selectorELNS0_4arch9wavefront6targetE0EEEvSM_.uses_flat_scratch, 0
	.set _ZN7rocprim17ROCPRIM_400000_NS6detail17trampoline_kernelINS0_14default_configENS1_22reduce_config_selectorIfEEZNS1_11reduce_implILb1ES3_N6thrust23THRUST_200600_302600_NS11hip_rocprim26transform_input_iterator_tIfNS8_17counting_iteratorIiNS8_11use_defaultESC_SC_EE11estimate_piEEPffNS8_4plusIfEEEE10hipError_tPvRmT1_T2_T3_mT4_P12ihipStream_tbEUlT_E0_NS1_11comp_targetILNS1_3genE2ELNS1_11target_archE906ELNS1_3gpuE6ELNS1_3repE0EEENS1_30default_config_static_selectorELNS0_4arch9wavefront6targetE0EEEvSM_.has_dyn_sized_stack, 0
	.set _ZN7rocprim17ROCPRIM_400000_NS6detail17trampoline_kernelINS0_14default_configENS1_22reduce_config_selectorIfEEZNS1_11reduce_implILb1ES3_N6thrust23THRUST_200600_302600_NS11hip_rocprim26transform_input_iterator_tIfNS8_17counting_iteratorIiNS8_11use_defaultESC_SC_EE11estimate_piEEPffNS8_4plusIfEEEE10hipError_tPvRmT1_T2_T3_mT4_P12ihipStream_tbEUlT_E0_NS1_11comp_targetILNS1_3genE2ELNS1_11target_archE906ELNS1_3gpuE6ELNS1_3repE0EEENS1_30default_config_static_selectorELNS0_4arch9wavefront6targetE0EEEvSM_.has_recursion, 0
	.set _ZN7rocprim17ROCPRIM_400000_NS6detail17trampoline_kernelINS0_14default_configENS1_22reduce_config_selectorIfEEZNS1_11reduce_implILb1ES3_N6thrust23THRUST_200600_302600_NS11hip_rocprim26transform_input_iterator_tIfNS8_17counting_iteratorIiNS8_11use_defaultESC_SC_EE11estimate_piEEPffNS8_4plusIfEEEE10hipError_tPvRmT1_T2_T3_mT4_P12ihipStream_tbEUlT_E0_NS1_11comp_targetILNS1_3genE2ELNS1_11target_archE906ELNS1_3gpuE6ELNS1_3repE0EEENS1_30default_config_static_selectorELNS0_4arch9wavefront6targetE0EEEvSM_.has_indirect_call, 0
	.section	.AMDGPU.csdata,"",@progbits
; Kernel info:
; codeLenInByte = 0
; TotalNumSgprs: 0
; NumVgprs: 0
; ScratchSize: 0
; MemoryBound: 0
; FloatMode: 240
; IeeeMode: 1
; LDSByteSize: 0 bytes/workgroup (compile time only)
; SGPRBlocks: 0
; VGPRBlocks: 0
; NumSGPRsForWavesPerEU: 1
; NumVGPRsForWavesPerEU: 1
; NamedBarCnt: 0
; Occupancy: 16
; WaveLimiterHint : 0
; COMPUTE_PGM_RSRC2:SCRATCH_EN: 0
; COMPUTE_PGM_RSRC2:USER_SGPR: 2
; COMPUTE_PGM_RSRC2:TRAP_HANDLER: 0
; COMPUTE_PGM_RSRC2:TGID_X_EN: 1
; COMPUTE_PGM_RSRC2:TGID_Y_EN: 0
; COMPUTE_PGM_RSRC2:TGID_Z_EN: 0
; COMPUTE_PGM_RSRC2:TIDIG_COMP_CNT: 0
	.section	.text._ZN7rocprim17ROCPRIM_400000_NS6detail17trampoline_kernelINS0_14default_configENS1_22reduce_config_selectorIfEEZNS1_11reduce_implILb1ES3_N6thrust23THRUST_200600_302600_NS11hip_rocprim26transform_input_iterator_tIfNS8_17counting_iteratorIiNS8_11use_defaultESC_SC_EE11estimate_piEEPffNS8_4plusIfEEEE10hipError_tPvRmT1_T2_T3_mT4_P12ihipStream_tbEUlT_E0_NS1_11comp_targetILNS1_3genE10ELNS1_11target_archE1201ELNS1_3gpuE5ELNS1_3repE0EEENS1_30default_config_static_selectorELNS0_4arch9wavefront6targetE0EEEvSM_,"axG",@progbits,_ZN7rocprim17ROCPRIM_400000_NS6detail17trampoline_kernelINS0_14default_configENS1_22reduce_config_selectorIfEEZNS1_11reduce_implILb1ES3_N6thrust23THRUST_200600_302600_NS11hip_rocprim26transform_input_iterator_tIfNS8_17counting_iteratorIiNS8_11use_defaultESC_SC_EE11estimate_piEEPffNS8_4plusIfEEEE10hipError_tPvRmT1_T2_T3_mT4_P12ihipStream_tbEUlT_E0_NS1_11comp_targetILNS1_3genE10ELNS1_11target_archE1201ELNS1_3gpuE5ELNS1_3repE0EEENS1_30default_config_static_selectorELNS0_4arch9wavefront6targetE0EEEvSM_,comdat
	.protected	_ZN7rocprim17ROCPRIM_400000_NS6detail17trampoline_kernelINS0_14default_configENS1_22reduce_config_selectorIfEEZNS1_11reduce_implILb1ES3_N6thrust23THRUST_200600_302600_NS11hip_rocprim26transform_input_iterator_tIfNS8_17counting_iteratorIiNS8_11use_defaultESC_SC_EE11estimate_piEEPffNS8_4plusIfEEEE10hipError_tPvRmT1_T2_T3_mT4_P12ihipStream_tbEUlT_E0_NS1_11comp_targetILNS1_3genE10ELNS1_11target_archE1201ELNS1_3gpuE5ELNS1_3repE0EEENS1_30default_config_static_selectorELNS0_4arch9wavefront6targetE0EEEvSM_ ; -- Begin function _ZN7rocprim17ROCPRIM_400000_NS6detail17trampoline_kernelINS0_14default_configENS1_22reduce_config_selectorIfEEZNS1_11reduce_implILb1ES3_N6thrust23THRUST_200600_302600_NS11hip_rocprim26transform_input_iterator_tIfNS8_17counting_iteratorIiNS8_11use_defaultESC_SC_EE11estimate_piEEPffNS8_4plusIfEEEE10hipError_tPvRmT1_T2_T3_mT4_P12ihipStream_tbEUlT_E0_NS1_11comp_targetILNS1_3genE10ELNS1_11target_archE1201ELNS1_3gpuE5ELNS1_3repE0EEENS1_30default_config_static_selectorELNS0_4arch9wavefront6targetE0EEEvSM_
	.globl	_ZN7rocprim17ROCPRIM_400000_NS6detail17trampoline_kernelINS0_14default_configENS1_22reduce_config_selectorIfEEZNS1_11reduce_implILb1ES3_N6thrust23THRUST_200600_302600_NS11hip_rocprim26transform_input_iterator_tIfNS8_17counting_iteratorIiNS8_11use_defaultESC_SC_EE11estimate_piEEPffNS8_4plusIfEEEE10hipError_tPvRmT1_T2_T3_mT4_P12ihipStream_tbEUlT_E0_NS1_11comp_targetILNS1_3genE10ELNS1_11target_archE1201ELNS1_3gpuE5ELNS1_3repE0EEENS1_30default_config_static_selectorELNS0_4arch9wavefront6targetE0EEEvSM_
	.p2align	8
	.type	_ZN7rocprim17ROCPRIM_400000_NS6detail17trampoline_kernelINS0_14default_configENS1_22reduce_config_selectorIfEEZNS1_11reduce_implILb1ES3_N6thrust23THRUST_200600_302600_NS11hip_rocprim26transform_input_iterator_tIfNS8_17counting_iteratorIiNS8_11use_defaultESC_SC_EE11estimate_piEEPffNS8_4plusIfEEEE10hipError_tPvRmT1_T2_T3_mT4_P12ihipStream_tbEUlT_E0_NS1_11comp_targetILNS1_3genE10ELNS1_11target_archE1201ELNS1_3gpuE5ELNS1_3repE0EEENS1_30default_config_static_selectorELNS0_4arch9wavefront6targetE0EEEvSM_,@function
_ZN7rocprim17ROCPRIM_400000_NS6detail17trampoline_kernelINS0_14default_configENS1_22reduce_config_selectorIfEEZNS1_11reduce_implILb1ES3_N6thrust23THRUST_200600_302600_NS11hip_rocprim26transform_input_iterator_tIfNS8_17counting_iteratorIiNS8_11use_defaultESC_SC_EE11estimate_piEEPffNS8_4plusIfEEEE10hipError_tPvRmT1_T2_T3_mT4_P12ihipStream_tbEUlT_E0_NS1_11comp_targetILNS1_3genE10ELNS1_11target_archE1201ELNS1_3gpuE5ELNS1_3repE0EEENS1_30default_config_static_selectorELNS0_4arch9wavefront6targetE0EEEvSM_: ; @_ZN7rocprim17ROCPRIM_400000_NS6detail17trampoline_kernelINS0_14default_configENS1_22reduce_config_selectorIfEEZNS1_11reduce_implILb1ES3_N6thrust23THRUST_200600_302600_NS11hip_rocprim26transform_input_iterator_tIfNS8_17counting_iteratorIiNS8_11use_defaultESC_SC_EE11estimate_piEEPffNS8_4plusIfEEEE10hipError_tPvRmT1_T2_T3_mT4_P12ihipStream_tbEUlT_E0_NS1_11comp_targetILNS1_3genE10ELNS1_11target_archE1201ELNS1_3gpuE5ELNS1_3repE0EEENS1_30default_config_static_selectorELNS0_4arch9wavefront6targetE0EEEvSM_
; %bb.0:
	.section	.rodata,"a",@progbits
	.p2align	6, 0x0
	.amdhsa_kernel _ZN7rocprim17ROCPRIM_400000_NS6detail17trampoline_kernelINS0_14default_configENS1_22reduce_config_selectorIfEEZNS1_11reduce_implILb1ES3_N6thrust23THRUST_200600_302600_NS11hip_rocprim26transform_input_iterator_tIfNS8_17counting_iteratorIiNS8_11use_defaultESC_SC_EE11estimate_piEEPffNS8_4plusIfEEEE10hipError_tPvRmT1_T2_T3_mT4_P12ihipStream_tbEUlT_E0_NS1_11comp_targetILNS1_3genE10ELNS1_11target_archE1201ELNS1_3gpuE5ELNS1_3repE0EEENS1_30default_config_static_selectorELNS0_4arch9wavefront6targetE0EEEvSM_
		.amdhsa_group_segment_fixed_size 0
		.amdhsa_private_segment_fixed_size 0
		.amdhsa_kernarg_size 56
		.amdhsa_user_sgpr_count 2
		.amdhsa_user_sgpr_dispatch_ptr 0
		.amdhsa_user_sgpr_queue_ptr 0
		.amdhsa_user_sgpr_kernarg_segment_ptr 1
		.amdhsa_user_sgpr_dispatch_id 0
		.amdhsa_user_sgpr_kernarg_preload_length 0
		.amdhsa_user_sgpr_kernarg_preload_offset 0
		.amdhsa_user_sgpr_private_segment_size 0
		.amdhsa_wavefront_size32 1
		.amdhsa_uses_dynamic_stack 0
		.amdhsa_enable_private_segment 0
		.amdhsa_system_sgpr_workgroup_id_x 1
		.amdhsa_system_sgpr_workgroup_id_y 0
		.amdhsa_system_sgpr_workgroup_id_z 0
		.amdhsa_system_sgpr_workgroup_info 0
		.amdhsa_system_vgpr_workitem_id 0
		.amdhsa_next_free_vgpr 1
		.amdhsa_next_free_sgpr 1
		.amdhsa_named_barrier_count 0
		.amdhsa_reserve_vcc 0
		.amdhsa_float_round_mode_32 0
		.amdhsa_float_round_mode_16_64 0
		.amdhsa_float_denorm_mode_32 3
		.amdhsa_float_denorm_mode_16_64 3
		.amdhsa_fp16_overflow 0
		.amdhsa_memory_ordered 1
		.amdhsa_forward_progress 1
		.amdhsa_inst_pref_size 0
		.amdhsa_round_robin_scheduling 0
		.amdhsa_exception_fp_ieee_invalid_op 0
		.amdhsa_exception_fp_denorm_src 0
		.amdhsa_exception_fp_ieee_div_zero 0
		.amdhsa_exception_fp_ieee_overflow 0
		.amdhsa_exception_fp_ieee_underflow 0
		.amdhsa_exception_fp_ieee_inexact 0
		.amdhsa_exception_int_div_zero 0
	.end_amdhsa_kernel
	.section	.text._ZN7rocprim17ROCPRIM_400000_NS6detail17trampoline_kernelINS0_14default_configENS1_22reduce_config_selectorIfEEZNS1_11reduce_implILb1ES3_N6thrust23THRUST_200600_302600_NS11hip_rocprim26transform_input_iterator_tIfNS8_17counting_iteratorIiNS8_11use_defaultESC_SC_EE11estimate_piEEPffNS8_4plusIfEEEE10hipError_tPvRmT1_T2_T3_mT4_P12ihipStream_tbEUlT_E0_NS1_11comp_targetILNS1_3genE10ELNS1_11target_archE1201ELNS1_3gpuE5ELNS1_3repE0EEENS1_30default_config_static_selectorELNS0_4arch9wavefront6targetE0EEEvSM_,"axG",@progbits,_ZN7rocprim17ROCPRIM_400000_NS6detail17trampoline_kernelINS0_14default_configENS1_22reduce_config_selectorIfEEZNS1_11reduce_implILb1ES3_N6thrust23THRUST_200600_302600_NS11hip_rocprim26transform_input_iterator_tIfNS8_17counting_iteratorIiNS8_11use_defaultESC_SC_EE11estimate_piEEPffNS8_4plusIfEEEE10hipError_tPvRmT1_T2_T3_mT4_P12ihipStream_tbEUlT_E0_NS1_11comp_targetILNS1_3genE10ELNS1_11target_archE1201ELNS1_3gpuE5ELNS1_3repE0EEENS1_30default_config_static_selectorELNS0_4arch9wavefront6targetE0EEEvSM_,comdat
.Lfunc_end23:
	.size	_ZN7rocprim17ROCPRIM_400000_NS6detail17trampoline_kernelINS0_14default_configENS1_22reduce_config_selectorIfEEZNS1_11reduce_implILb1ES3_N6thrust23THRUST_200600_302600_NS11hip_rocprim26transform_input_iterator_tIfNS8_17counting_iteratorIiNS8_11use_defaultESC_SC_EE11estimate_piEEPffNS8_4plusIfEEEE10hipError_tPvRmT1_T2_T3_mT4_P12ihipStream_tbEUlT_E0_NS1_11comp_targetILNS1_3genE10ELNS1_11target_archE1201ELNS1_3gpuE5ELNS1_3repE0EEENS1_30default_config_static_selectorELNS0_4arch9wavefront6targetE0EEEvSM_, .Lfunc_end23-_ZN7rocprim17ROCPRIM_400000_NS6detail17trampoline_kernelINS0_14default_configENS1_22reduce_config_selectorIfEEZNS1_11reduce_implILb1ES3_N6thrust23THRUST_200600_302600_NS11hip_rocprim26transform_input_iterator_tIfNS8_17counting_iteratorIiNS8_11use_defaultESC_SC_EE11estimate_piEEPffNS8_4plusIfEEEE10hipError_tPvRmT1_T2_T3_mT4_P12ihipStream_tbEUlT_E0_NS1_11comp_targetILNS1_3genE10ELNS1_11target_archE1201ELNS1_3gpuE5ELNS1_3repE0EEENS1_30default_config_static_selectorELNS0_4arch9wavefront6targetE0EEEvSM_
                                        ; -- End function
	.set _ZN7rocprim17ROCPRIM_400000_NS6detail17trampoline_kernelINS0_14default_configENS1_22reduce_config_selectorIfEEZNS1_11reduce_implILb1ES3_N6thrust23THRUST_200600_302600_NS11hip_rocprim26transform_input_iterator_tIfNS8_17counting_iteratorIiNS8_11use_defaultESC_SC_EE11estimate_piEEPffNS8_4plusIfEEEE10hipError_tPvRmT1_T2_T3_mT4_P12ihipStream_tbEUlT_E0_NS1_11comp_targetILNS1_3genE10ELNS1_11target_archE1201ELNS1_3gpuE5ELNS1_3repE0EEENS1_30default_config_static_selectorELNS0_4arch9wavefront6targetE0EEEvSM_.num_vgpr, 0
	.set _ZN7rocprim17ROCPRIM_400000_NS6detail17trampoline_kernelINS0_14default_configENS1_22reduce_config_selectorIfEEZNS1_11reduce_implILb1ES3_N6thrust23THRUST_200600_302600_NS11hip_rocprim26transform_input_iterator_tIfNS8_17counting_iteratorIiNS8_11use_defaultESC_SC_EE11estimate_piEEPffNS8_4plusIfEEEE10hipError_tPvRmT1_T2_T3_mT4_P12ihipStream_tbEUlT_E0_NS1_11comp_targetILNS1_3genE10ELNS1_11target_archE1201ELNS1_3gpuE5ELNS1_3repE0EEENS1_30default_config_static_selectorELNS0_4arch9wavefront6targetE0EEEvSM_.num_agpr, 0
	.set _ZN7rocprim17ROCPRIM_400000_NS6detail17trampoline_kernelINS0_14default_configENS1_22reduce_config_selectorIfEEZNS1_11reduce_implILb1ES3_N6thrust23THRUST_200600_302600_NS11hip_rocprim26transform_input_iterator_tIfNS8_17counting_iteratorIiNS8_11use_defaultESC_SC_EE11estimate_piEEPffNS8_4plusIfEEEE10hipError_tPvRmT1_T2_T3_mT4_P12ihipStream_tbEUlT_E0_NS1_11comp_targetILNS1_3genE10ELNS1_11target_archE1201ELNS1_3gpuE5ELNS1_3repE0EEENS1_30default_config_static_selectorELNS0_4arch9wavefront6targetE0EEEvSM_.numbered_sgpr, 0
	.set _ZN7rocprim17ROCPRIM_400000_NS6detail17trampoline_kernelINS0_14default_configENS1_22reduce_config_selectorIfEEZNS1_11reduce_implILb1ES3_N6thrust23THRUST_200600_302600_NS11hip_rocprim26transform_input_iterator_tIfNS8_17counting_iteratorIiNS8_11use_defaultESC_SC_EE11estimate_piEEPffNS8_4plusIfEEEE10hipError_tPvRmT1_T2_T3_mT4_P12ihipStream_tbEUlT_E0_NS1_11comp_targetILNS1_3genE10ELNS1_11target_archE1201ELNS1_3gpuE5ELNS1_3repE0EEENS1_30default_config_static_selectorELNS0_4arch9wavefront6targetE0EEEvSM_.num_named_barrier, 0
	.set _ZN7rocprim17ROCPRIM_400000_NS6detail17trampoline_kernelINS0_14default_configENS1_22reduce_config_selectorIfEEZNS1_11reduce_implILb1ES3_N6thrust23THRUST_200600_302600_NS11hip_rocprim26transform_input_iterator_tIfNS8_17counting_iteratorIiNS8_11use_defaultESC_SC_EE11estimate_piEEPffNS8_4plusIfEEEE10hipError_tPvRmT1_T2_T3_mT4_P12ihipStream_tbEUlT_E0_NS1_11comp_targetILNS1_3genE10ELNS1_11target_archE1201ELNS1_3gpuE5ELNS1_3repE0EEENS1_30default_config_static_selectorELNS0_4arch9wavefront6targetE0EEEvSM_.private_seg_size, 0
	.set _ZN7rocprim17ROCPRIM_400000_NS6detail17trampoline_kernelINS0_14default_configENS1_22reduce_config_selectorIfEEZNS1_11reduce_implILb1ES3_N6thrust23THRUST_200600_302600_NS11hip_rocprim26transform_input_iterator_tIfNS8_17counting_iteratorIiNS8_11use_defaultESC_SC_EE11estimate_piEEPffNS8_4plusIfEEEE10hipError_tPvRmT1_T2_T3_mT4_P12ihipStream_tbEUlT_E0_NS1_11comp_targetILNS1_3genE10ELNS1_11target_archE1201ELNS1_3gpuE5ELNS1_3repE0EEENS1_30default_config_static_selectorELNS0_4arch9wavefront6targetE0EEEvSM_.uses_vcc, 0
	.set _ZN7rocprim17ROCPRIM_400000_NS6detail17trampoline_kernelINS0_14default_configENS1_22reduce_config_selectorIfEEZNS1_11reduce_implILb1ES3_N6thrust23THRUST_200600_302600_NS11hip_rocprim26transform_input_iterator_tIfNS8_17counting_iteratorIiNS8_11use_defaultESC_SC_EE11estimate_piEEPffNS8_4plusIfEEEE10hipError_tPvRmT1_T2_T3_mT4_P12ihipStream_tbEUlT_E0_NS1_11comp_targetILNS1_3genE10ELNS1_11target_archE1201ELNS1_3gpuE5ELNS1_3repE0EEENS1_30default_config_static_selectorELNS0_4arch9wavefront6targetE0EEEvSM_.uses_flat_scratch, 0
	.set _ZN7rocprim17ROCPRIM_400000_NS6detail17trampoline_kernelINS0_14default_configENS1_22reduce_config_selectorIfEEZNS1_11reduce_implILb1ES3_N6thrust23THRUST_200600_302600_NS11hip_rocprim26transform_input_iterator_tIfNS8_17counting_iteratorIiNS8_11use_defaultESC_SC_EE11estimate_piEEPffNS8_4plusIfEEEE10hipError_tPvRmT1_T2_T3_mT4_P12ihipStream_tbEUlT_E0_NS1_11comp_targetILNS1_3genE10ELNS1_11target_archE1201ELNS1_3gpuE5ELNS1_3repE0EEENS1_30default_config_static_selectorELNS0_4arch9wavefront6targetE0EEEvSM_.has_dyn_sized_stack, 0
	.set _ZN7rocprim17ROCPRIM_400000_NS6detail17trampoline_kernelINS0_14default_configENS1_22reduce_config_selectorIfEEZNS1_11reduce_implILb1ES3_N6thrust23THRUST_200600_302600_NS11hip_rocprim26transform_input_iterator_tIfNS8_17counting_iteratorIiNS8_11use_defaultESC_SC_EE11estimate_piEEPffNS8_4plusIfEEEE10hipError_tPvRmT1_T2_T3_mT4_P12ihipStream_tbEUlT_E0_NS1_11comp_targetILNS1_3genE10ELNS1_11target_archE1201ELNS1_3gpuE5ELNS1_3repE0EEENS1_30default_config_static_selectorELNS0_4arch9wavefront6targetE0EEEvSM_.has_recursion, 0
	.set _ZN7rocprim17ROCPRIM_400000_NS6detail17trampoline_kernelINS0_14default_configENS1_22reduce_config_selectorIfEEZNS1_11reduce_implILb1ES3_N6thrust23THRUST_200600_302600_NS11hip_rocprim26transform_input_iterator_tIfNS8_17counting_iteratorIiNS8_11use_defaultESC_SC_EE11estimate_piEEPffNS8_4plusIfEEEE10hipError_tPvRmT1_T2_T3_mT4_P12ihipStream_tbEUlT_E0_NS1_11comp_targetILNS1_3genE10ELNS1_11target_archE1201ELNS1_3gpuE5ELNS1_3repE0EEENS1_30default_config_static_selectorELNS0_4arch9wavefront6targetE0EEEvSM_.has_indirect_call, 0
	.section	.AMDGPU.csdata,"",@progbits
; Kernel info:
; codeLenInByte = 0
; TotalNumSgprs: 0
; NumVgprs: 0
; ScratchSize: 0
; MemoryBound: 0
; FloatMode: 240
; IeeeMode: 1
; LDSByteSize: 0 bytes/workgroup (compile time only)
; SGPRBlocks: 0
; VGPRBlocks: 0
; NumSGPRsForWavesPerEU: 1
; NumVGPRsForWavesPerEU: 1
; NamedBarCnt: 0
; Occupancy: 16
; WaveLimiterHint : 0
; COMPUTE_PGM_RSRC2:SCRATCH_EN: 0
; COMPUTE_PGM_RSRC2:USER_SGPR: 2
; COMPUTE_PGM_RSRC2:TRAP_HANDLER: 0
; COMPUTE_PGM_RSRC2:TGID_X_EN: 1
; COMPUTE_PGM_RSRC2:TGID_Y_EN: 0
; COMPUTE_PGM_RSRC2:TGID_Z_EN: 0
; COMPUTE_PGM_RSRC2:TIDIG_COMP_CNT: 0
	.section	.text._ZN7rocprim17ROCPRIM_400000_NS6detail17trampoline_kernelINS0_14default_configENS1_22reduce_config_selectorIfEEZNS1_11reduce_implILb1ES3_N6thrust23THRUST_200600_302600_NS11hip_rocprim26transform_input_iterator_tIfNS8_17counting_iteratorIiNS8_11use_defaultESC_SC_EE11estimate_piEEPffNS8_4plusIfEEEE10hipError_tPvRmT1_T2_T3_mT4_P12ihipStream_tbEUlT_E0_NS1_11comp_targetILNS1_3genE10ELNS1_11target_archE1200ELNS1_3gpuE4ELNS1_3repE0EEENS1_30default_config_static_selectorELNS0_4arch9wavefront6targetE0EEEvSM_,"axG",@progbits,_ZN7rocprim17ROCPRIM_400000_NS6detail17trampoline_kernelINS0_14default_configENS1_22reduce_config_selectorIfEEZNS1_11reduce_implILb1ES3_N6thrust23THRUST_200600_302600_NS11hip_rocprim26transform_input_iterator_tIfNS8_17counting_iteratorIiNS8_11use_defaultESC_SC_EE11estimate_piEEPffNS8_4plusIfEEEE10hipError_tPvRmT1_T2_T3_mT4_P12ihipStream_tbEUlT_E0_NS1_11comp_targetILNS1_3genE10ELNS1_11target_archE1200ELNS1_3gpuE4ELNS1_3repE0EEENS1_30default_config_static_selectorELNS0_4arch9wavefront6targetE0EEEvSM_,comdat
	.protected	_ZN7rocprim17ROCPRIM_400000_NS6detail17trampoline_kernelINS0_14default_configENS1_22reduce_config_selectorIfEEZNS1_11reduce_implILb1ES3_N6thrust23THRUST_200600_302600_NS11hip_rocprim26transform_input_iterator_tIfNS8_17counting_iteratorIiNS8_11use_defaultESC_SC_EE11estimate_piEEPffNS8_4plusIfEEEE10hipError_tPvRmT1_T2_T3_mT4_P12ihipStream_tbEUlT_E0_NS1_11comp_targetILNS1_3genE10ELNS1_11target_archE1200ELNS1_3gpuE4ELNS1_3repE0EEENS1_30default_config_static_selectorELNS0_4arch9wavefront6targetE0EEEvSM_ ; -- Begin function _ZN7rocprim17ROCPRIM_400000_NS6detail17trampoline_kernelINS0_14default_configENS1_22reduce_config_selectorIfEEZNS1_11reduce_implILb1ES3_N6thrust23THRUST_200600_302600_NS11hip_rocprim26transform_input_iterator_tIfNS8_17counting_iteratorIiNS8_11use_defaultESC_SC_EE11estimate_piEEPffNS8_4plusIfEEEE10hipError_tPvRmT1_T2_T3_mT4_P12ihipStream_tbEUlT_E0_NS1_11comp_targetILNS1_3genE10ELNS1_11target_archE1200ELNS1_3gpuE4ELNS1_3repE0EEENS1_30default_config_static_selectorELNS0_4arch9wavefront6targetE0EEEvSM_
	.globl	_ZN7rocprim17ROCPRIM_400000_NS6detail17trampoline_kernelINS0_14default_configENS1_22reduce_config_selectorIfEEZNS1_11reduce_implILb1ES3_N6thrust23THRUST_200600_302600_NS11hip_rocprim26transform_input_iterator_tIfNS8_17counting_iteratorIiNS8_11use_defaultESC_SC_EE11estimate_piEEPffNS8_4plusIfEEEE10hipError_tPvRmT1_T2_T3_mT4_P12ihipStream_tbEUlT_E0_NS1_11comp_targetILNS1_3genE10ELNS1_11target_archE1200ELNS1_3gpuE4ELNS1_3repE0EEENS1_30default_config_static_selectorELNS0_4arch9wavefront6targetE0EEEvSM_
	.p2align	8
	.type	_ZN7rocprim17ROCPRIM_400000_NS6detail17trampoline_kernelINS0_14default_configENS1_22reduce_config_selectorIfEEZNS1_11reduce_implILb1ES3_N6thrust23THRUST_200600_302600_NS11hip_rocprim26transform_input_iterator_tIfNS8_17counting_iteratorIiNS8_11use_defaultESC_SC_EE11estimate_piEEPffNS8_4plusIfEEEE10hipError_tPvRmT1_T2_T3_mT4_P12ihipStream_tbEUlT_E0_NS1_11comp_targetILNS1_3genE10ELNS1_11target_archE1200ELNS1_3gpuE4ELNS1_3repE0EEENS1_30default_config_static_selectorELNS0_4arch9wavefront6targetE0EEEvSM_,@function
_ZN7rocprim17ROCPRIM_400000_NS6detail17trampoline_kernelINS0_14default_configENS1_22reduce_config_selectorIfEEZNS1_11reduce_implILb1ES3_N6thrust23THRUST_200600_302600_NS11hip_rocprim26transform_input_iterator_tIfNS8_17counting_iteratorIiNS8_11use_defaultESC_SC_EE11estimate_piEEPffNS8_4plusIfEEEE10hipError_tPvRmT1_T2_T3_mT4_P12ihipStream_tbEUlT_E0_NS1_11comp_targetILNS1_3genE10ELNS1_11target_archE1200ELNS1_3gpuE4ELNS1_3repE0EEENS1_30default_config_static_selectorELNS0_4arch9wavefront6targetE0EEEvSM_: ; @_ZN7rocprim17ROCPRIM_400000_NS6detail17trampoline_kernelINS0_14default_configENS1_22reduce_config_selectorIfEEZNS1_11reduce_implILb1ES3_N6thrust23THRUST_200600_302600_NS11hip_rocprim26transform_input_iterator_tIfNS8_17counting_iteratorIiNS8_11use_defaultESC_SC_EE11estimate_piEEPffNS8_4plusIfEEEE10hipError_tPvRmT1_T2_T3_mT4_P12ihipStream_tbEUlT_E0_NS1_11comp_targetILNS1_3genE10ELNS1_11target_archE1200ELNS1_3gpuE4ELNS1_3repE0EEENS1_30default_config_static_selectorELNS0_4arch9wavefront6targetE0EEEvSM_
; %bb.0:
	.section	.rodata,"a",@progbits
	.p2align	6, 0x0
	.amdhsa_kernel _ZN7rocprim17ROCPRIM_400000_NS6detail17trampoline_kernelINS0_14default_configENS1_22reduce_config_selectorIfEEZNS1_11reduce_implILb1ES3_N6thrust23THRUST_200600_302600_NS11hip_rocprim26transform_input_iterator_tIfNS8_17counting_iteratorIiNS8_11use_defaultESC_SC_EE11estimate_piEEPffNS8_4plusIfEEEE10hipError_tPvRmT1_T2_T3_mT4_P12ihipStream_tbEUlT_E0_NS1_11comp_targetILNS1_3genE10ELNS1_11target_archE1200ELNS1_3gpuE4ELNS1_3repE0EEENS1_30default_config_static_selectorELNS0_4arch9wavefront6targetE0EEEvSM_
		.amdhsa_group_segment_fixed_size 0
		.amdhsa_private_segment_fixed_size 0
		.amdhsa_kernarg_size 56
		.amdhsa_user_sgpr_count 2
		.amdhsa_user_sgpr_dispatch_ptr 0
		.amdhsa_user_sgpr_queue_ptr 0
		.amdhsa_user_sgpr_kernarg_segment_ptr 1
		.amdhsa_user_sgpr_dispatch_id 0
		.amdhsa_user_sgpr_kernarg_preload_length 0
		.amdhsa_user_sgpr_kernarg_preload_offset 0
		.amdhsa_user_sgpr_private_segment_size 0
		.amdhsa_wavefront_size32 1
		.amdhsa_uses_dynamic_stack 0
		.amdhsa_enable_private_segment 0
		.amdhsa_system_sgpr_workgroup_id_x 1
		.amdhsa_system_sgpr_workgroup_id_y 0
		.amdhsa_system_sgpr_workgroup_id_z 0
		.amdhsa_system_sgpr_workgroup_info 0
		.amdhsa_system_vgpr_workitem_id 0
		.amdhsa_next_free_vgpr 1
		.amdhsa_next_free_sgpr 1
		.amdhsa_named_barrier_count 0
		.amdhsa_reserve_vcc 0
		.amdhsa_float_round_mode_32 0
		.amdhsa_float_round_mode_16_64 0
		.amdhsa_float_denorm_mode_32 3
		.amdhsa_float_denorm_mode_16_64 3
		.amdhsa_fp16_overflow 0
		.amdhsa_memory_ordered 1
		.amdhsa_forward_progress 1
		.amdhsa_inst_pref_size 0
		.amdhsa_round_robin_scheduling 0
		.amdhsa_exception_fp_ieee_invalid_op 0
		.amdhsa_exception_fp_denorm_src 0
		.amdhsa_exception_fp_ieee_div_zero 0
		.amdhsa_exception_fp_ieee_overflow 0
		.amdhsa_exception_fp_ieee_underflow 0
		.amdhsa_exception_fp_ieee_inexact 0
		.amdhsa_exception_int_div_zero 0
	.end_amdhsa_kernel
	.section	.text._ZN7rocprim17ROCPRIM_400000_NS6detail17trampoline_kernelINS0_14default_configENS1_22reduce_config_selectorIfEEZNS1_11reduce_implILb1ES3_N6thrust23THRUST_200600_302600_NS11hip_rocprim26transform_input_iterator_tIfNS8_17counting_iteratorIiNS8_11use_defaultESC_SC_EE11estimate_piEEPffNS8_4plusIfEEEE10hipError_tPvRmT1_T2_T3_mT4_P12ihipStream_tbEUlT_E0_NS1_11comp_targetILNS1_3genE10ELNS1_11target_archE1200ELNS1_3gpuE4ELNS1_3repE0EEENS1_30default_config_static_selectorELNS0_4arch9wavefront6targetE0EEEvSM_,"axG",@progbits,_ZN7rocprim17ROCPRIM_400000_NS6detail17trampoline_kernelINS0_14default_configENS1_22reduce_config_selectorIfEEZNS1_11reduce_implILb1ES3_N6thrust23THRUST_200600_302600_NS11hip_rocprim26transform_input_iterator_tIfNS8_17counting_iteratorIiNS8_11use_defaultESC_SC_EE11estimate_piEEPffNS8_4plusIfEEEE10hipError_tPvRmT1_T2_T3_mT4_P12ihipStream_tbEUlT_E0_NS1_11comp_targetILNS1_3genE10ELNS1_11target_archE1200ELNS1_3gpuE4ELNS1_3repE0EEENS1_30default_config_static_selectorELNS0_4arch9wavefront6targetE0EEEvSM_,comdat
.Lfunc_end24:
	.size	_ZN7rocprim17ROCPRIM_400000_NS6detail17trampoline_kernelINS0_14default_configENS1_22reduce_config_selectorIfEEZNS1_11reduce_implILb1ES3_N6thrust23THRUST_200600_302600_NS11hip_rocprim26transform_input_iterator_tIfNS8_17counting_iteratorIiNS8_11use_defaultESC_SC_EE11estimate_piEEPffNS8_4plusIfEEEE10hipError_tPvRmT1_T2_T3_mT4_P12ihipStream_tbEUlT_E0_NS1_11comp_targetILNS1_3genE10ELNS1_11target_archE1200ELNS1_3gpuE4ELNS1_3repE0EEENS1_30default_config_static_selectorELNS0_4arch9wavefront6targetE0EEEvSM_, .Lfunc_end24-_ZN7rocprim17ROCPRIM_400000_NS6detail17trampoline_kernelINS0_14default_configENS1_22reduce_config_selectorIfEEZNS1_11reduce_implILb1ES3_N6thrust23THRUST_200600_302600_NS11hip_rocprim26transform_input_iterator_tIfNS8_17counting_iteratorIiNS8_11use_defaultESC_SC_EE11estimate_piEEPffNS8_4plusIfEEEE10hipError_tPvRmT1_T2_T3_mT4_P12ihipStream_tbEUlT_E0_NS1_11comp_targetILNS1_3genE10ELNS1_11target_archE1200ELNS1_3gpuE4ELNS1_3repE0EEENS1_30default_config_static_selectorELNS0_4arch9wavefront6targetE0EEEvSM_
                                        ; -- End function
	.set _ZN7rocprim17ROCPRIM_400000_NS6detail17trampoline_kernelINS0_14default_configENS1_22reduce_config_selectorIfEEZNS1_11reduce_implILb1ES3_N6thrust23THRUST_200600_302600_NS11hip_rocprim26transform_input_iterator_tIfNS8_17counting_iteratorIiNS8_11use_defaultESC_SC_EE11estimate_piEEPffNS8_4plusIfEEEE10hipError_tPvRmT1_T2_T3_mT4_P12ihipStream_tbEUlT_E0_NS1_11comp_targetILNS1_3genE10ELNS1_11target_archE1200ELNS1_3gpuE4ELNS1_3repE0EEENS1_30default_config_static_selectorELNS0_4arch9wavefront6targetE0EEEvSM_.num_vgpr, 0
	.set _ZN7rocprim17ROCPRIM_400000_NS6detail17trampoline_kernelINS0_14default_configENS1_22reduce_config_selectorIfEEZNS1_11reduce_implILb1ES3_N6thrust23THRUST_200600_302600_NS11hip_rocprim26transform_input_iterator_tIfNS8_17counting_iteratorIiNS8_11use_defaultESC_SC_EE11estimate_piEEPffNS8_4plusIfEEEE10hipError_tPvRmT1_T2_T3_mT4_P12ihipStream_tbEUlT_E0_NS1_11comp_targetILNS1_3genE10ELNS1_11target_archE1200ELNS1_3gpuE4ELNS1_3repE0EEENS1_30default_config_static_selectorELNS0_4arch9wavefront6targetE0EEEvSM_.num_agpr, 0
	.set _ZN7rocprim17ROCPRIM_400000_NS6detail17trampoline_kernelINS0_14default_configENS1_22reduce_config_selectorIfEEZNS1_11reduce_implILb1ES3_N6thrust23THRUST_200600_302600_NS11hip_rocprim26transform_input_iterator_tIfNS8_17counting_iteratorIiNS8_11use_defaultESC_SC_EE11estimate_piEEPffNS8_4plusIfEEEE10hipError_tPvRmT1_T2_T3_mT4_P12ihipStream_tbEUlT_E0_NS1_11comp_targetILNS1_3genE10ELNS1_11target_archE1200ELNS1_3gpuE4ELNS1_3repE0EEENS1_30default_config_static_selectorELNS0_4arch9wavefront6targetE0EEEvSM_.numbered_sgpr, 0
	.set _ZN7rocprim17ROCPRIM_400000_NS6detail17trampoline_kernelINS0_14default_configENS1_22reduce_config_selectorIfEEZNS1_11reduce_implILb1ES3_N6thrust23THRUST_200600_302600_NS11hip_rocprim26transform_input_iterator_tIfNS8_17counting_iteratorIiNS8_11use_defaultESC_SC_EE11estimate_piEEPffNS8_4plusIfEEEE10hipError_tPvRmT1_T2_T3_mT4_P12ihipStream_tbEUlT_E0_NS1_11comp_targetILNS1_3genE10ELNS1_11target_archE1200ELNS1_3gpuE4ELNS1_3repE0EEENS1_30default_config_static_selectorELNS0_4arch9wavefront6targetE0EEEvSM_.num_named_barrier, 0
	.set _ZN7rocprim17ROCPRIM_400000_NS6detail17trampoline_kernelINS0_14default_configENS1_22reduce_config_selectorIfEEZNS1_11reduce_implILb1ES3_N6thrust23THRUST_200600_302600_NS11hip_rocprim26transform_input_iterator_tIfNS8_17counting_iteratorIiNS8_11use_defaultESC_SC_EE11estimate_piEEPffNS8_4plusIfEEEE10hipError_tPvRmT1_T2_T3_mT4_P12ihipStream_tbEUlT_E0_NS1_11comp_targetILNS1_3genE10ELNS1_11target_archE1200ELNS1_3gpuE4ELNS1_3repE0EEENS1_30default_config_static_selectorELNS0_4arch9wavefront6targetE0EEEvSM_.private_seg_size, 0
	.set _ZN7rocprim17ROCPRIM_400000_NS6detail17trampoline_kernelINS0_14default_configENS1_22reduce_config_selectorIfEEZNS1_11reduce_implILb1ES3_N6thrust23THRUST_200600_302600_NS11hip_rocprim26transform_input_iterator_tIfNS8_17counting_iteratorIiNS8_11use_defaultESC_SC_EE11estimate_piEEPffNS8_4plusIfEEEE10hipError_tPvRmT1_T2_T3_mT4_P12ihipStream_tbEUlT_E0_NS1_11comp_targetILNS1_3genE10ELNS1_11target_archE1200ELNS1_3gpuE4ELNS1_3repE0EEENS1_30default_config_static_selectorELNS0_4arch9wavefront6targetE0EEEvSM_.uses_vcc, 0
	.set _ZN7rocprim17ROCPRIM_400000_NS6detail17trampoline_kernelINS0_14default_configENS1_22reduce_config_selectorIfEEZNS1_11reduce_implILb1ES3_N6thrust23THRUST_200600_302600_NS11hip_rocprim26transform_input_iterator_tIfNS8_17counting_iteratorIiNS8_11use_defaultESC_SC_EE11estimate_piEEPffNS8_4plusIfEEEE10hipError_tPvRmT1_T2_T3_mT4_P12ihipStream_tbEUlT_E0_NS1_11comp_targetILNS1_3genE10ELNS1_11target_archE1200ELNS1_3gpuE4ELNS1_3repE0EEENS1_30default_config_static_selectorELNS0_4arch9wavefront6targetE0EEEvSM_.uses_flat_scratch, 0
	.set _ZN7rocprim17ROCPRIM_400000_NS6detail17trampoline_kernelINS0_14default_configENS1_22reduce_config_selectorIfEEZNS1_11reduce_implILb1ES3_N6thrust23THRUST_200600_302600_NS11hip_rocprim26transform_input_iterator_tIfNS8_17counting_iteratorIiNS8_11use_defaultESC_SC_EE11estimate_piEEPffNS8_4plusIfEEEE10hipError_tPvRmT1_T2_T3_mT4_P12ihipStream_tbEUlT_E0_NS1_11comp_targetILNS1_3genE10ELNS1_11target_archE1200ELNS1_3gpuE4ELNS1_3repE0EEENS1_30default_config_static_selectorELNS0_4arch9wavefront6targetE0EEEvSM_.has_dyn_sized_stack, 0
	.set _ZN7rocprim17ROCPRIM_400000_NS6detail17trampoline_kernelINS0_14default_configENS1_22reduce_config_selectorIfEEZNS1_11reduce_implILb1ES3_N6thrust23THRUST_200600_302600_NS11hip_rocprim26transform_input_iterator_tIfNS8_17counting_iteratorIiNS8_11use_defaultESC_SC_EE11estimate_piEEPffNS8_4plusIfEEEE10hipError_tPvRmT1_T2_T3_mT4_P12ihipStream_tbEUlT_E0_NS1_11comp_targetILNS1_3genE10ELNS1_11target_archE1200ELNS1_3gpuE4ELNS1_3repE0EEENS1_30default_config_static_selectorELNS0_4arch9wavefront6targetE0EEEvSM_.has_recursion, 0
	.set _ZN7rocprim17ROCPRIM_400000_NS6detail17trampoline_kernelINS0_14default_configENS1_22reduce_config_selectorIfEEZNS1_11reduce_implILb1ES3_N6thrust23THRUST_200600_302600_NS11hip_rocprim26transform_input_iterator_tIfNS8_17counting_iteratorIiNS8_11use_defaultESC_SC_EE11estimate_piEEPffNS8_4plusIfEEEE10hipError_tPvRmT1_T2_T3_mT4_P12ihipStream_tbEUlT_E0_NS1_11comp_targetILNS1_3genE10ELNS1_11target_archE1200ELNS1_3gpuE4ELNS1_3repE0EEENS1_30default_config_static_selectorELNS0_4arch9wavefront6targetE0EEEvSM_.has_indirect_call, 0
	.section	.AMDGPU.csdata,"",@progbits
; Kernel info:
; codeLenInByte = 0
; TotalNumSgprs: 0
; NumVgprs: 0
; ScratchSize: 0
; MemoryBound: 0
; FloatMode: 240
; IeeeMode: 1
; LDSByteSize: 0 bytes/workgroup (compile time only)
; SGPRBlocks: 0
; VGPRBlocks: 0
; NumSGPRsForWavesPerEU: 1
; NumVGPRsForWavesPerEU: 1
; NamedBarCnt: 0
; Occupancy: 16
; WaveLimiterHint : 0
; COMPUTE_PGM_RSRC2:SCRATCH_EN: 0
; COMPUTE_PGM_RSRC2:USER_SGPR: 2
; COMPUTE_PGM_RSRC2:TRAP_HANDLER: 0
; COMPUTE_PGM_RSRC2:TGID_X_EN: 1
; COMPUTE_PGM_RSRC2:TGID_Y_EN: 0
; COMPUTE_PGM_RSRC2:TGID_Z_EN: 0
; COMPUTE_PGM_RSRC2:TIDIG_COMP_CNT: 0
	.section	.text._ZN7rocprim17ROCPRIM_400000_NS6detail17trampoline_kernelINS0_14default_configENS1_22reduce_config_selectorIfEEZNS1_11reduce_implILb1ES3_N6thrust23THRUST_200600_302600_NS11hip_rocprim26transform_input_iterator_tIfNS8_17counting_iteratorIiNS8_11use_defaultESC_SC_EE11estimate_piEEPffNS8_4plusIfEEEE10hipError_tPvRmT1_T2_T3_mT4_P12ihipStream_tbEUlT_E0_NS1_11comp_targetILNS1_3genE9ELNS1_11target_archE1100ELNS1_3gpuE3ELNS1_3repE0EEENS1_30default_config_static_selectorELNS0_4arch9wavefront6targetE0EEEvSM_,"axG",@progbits,_ZN7rocprim17ROCPRIM_400000_NS6detail17trampoline_kernelINS0_14default_configENS1_22reduce_config_selectorIfEEZNS1_11reduce_implILb1ES3_N6thrust23THRUST_200600_302600_NS11hip_rocprim26transform_input_iterator_tIfNS8_17counting_iteratorIiNS8_11use_defaultESC_SC_EE11estimate_piEEPffNS8_4plusIfEEEE10hipError_tPvRmT1_T2_T3_mT4_P12ihipStream_tbEUlT_E0_NS1_11comp_targetILNS1_3genE9ELNS1_11target_archE1100ELNS1_3gpuE3ELNS1_3repE0EEENS1_30default_config_static_selectorELNS0_4arch9wavefront6targetE0EEEvSM_,comdat
	.protected	_ZN7rocprim17ROCPRIM_400000_NS6detail17trampoline_kernelINS0_14default_configENS1_22reduce_config_selectorIfEEZNS1_11reduce_implILb1ES3_N6thrust23THRUST_200600_302600_NS11hip_rocprim26transform_input_iterator_tIfNS8_17counting_iteratorIiNS8_11use_defaultESC_SC_EE11estimate_piEEPffNS8_4plusIfEEEE10hipError_tPvRmT1_T2_T3_mT4_P12ihipStream_tbEUlT_E0_NS1_11comp_targetILNS1_3genE9ELNS1_11target_archE1100ELNS1_3gpuE3ELNS1_3repE0EEENS1_30default_config_static_selectorELNS0_4arch9wavefront6targetE0EEEvSM_ ; -- Begin function _ZN7rocprim17ROCPRIM_400000_NS6detail17trampoline_kernelINS0_14default_configENS1_22reduce_config_selectorIfEEZNS1_11reduce_implILb1ES3_N6thrust23THRUST_200600_302600_NS11hip_rocprim26transform_input_iterator_tIfNS8_17counting_iteratorIiNS8_11use_defaultESC_SC_EE11estimate_piEEPffNS8_4plusIfEEEE10hipError_tPvRmT1_T2_T3_mT4_P12ihipStream_tbEUlT_E0_NS1_11comp_targetILNS1_3genE9ELNS1_11target_archE1100ELNS1_3gpuE3ELNS1_3repE0EEENS1_30default_config_static_selectorELNS0_4arch9wavefront6targetE0EEEvSM_
	.globl	_ZN7rocprim17ROCPRIM_400000_NS6detail17trampoline_kernelINS0_14default_configENS1_22reduce_config_selectorIfEEZNS1_11reduce_implILb1ES3_N6thrust23THRUST_200600_302600_NS11hip_rocprim26transform_input_iterator_tIfNS8_17counting_iteratorIiNS8_11use_defaultESC_SC_EE11estimate_piEEPffNS8_4plusIfEEEE10hipError_tPvRmT1_T2_T3_mT4_P12ihipStream_tbEUlT_E0_NS1_11comp_targetILNS1_3genE9ELNS1_11target_archE1100ELNS1_3gpuE3ELNS1_3repE0EEENS1_30default_config_static_selectorELNS0_4arch9wavefront6targetE0EEEvSM_
	.p2align	8
	.type	_ZN7rocprim17ROCPRIM_400000_NS6detail17trampoline_kernelINS0_14default_configENS1_22reduce_config_selectorIfEEZNS1_11reduce_implILb1ES3_N6thrust23THRUST_200600_302600_NS11hip_rocprim26transform_input_iterator_tIfNS8_17counting_iteratorIiNS8_11use_defaultESC_SC_EE11estimate_piEEPffNS8_4plusIfEEEE10hipError_tPvRmT1_T2_T3_mT4_P12ihipStream_tbEUlT_E0_NS1_11comp_targetILNS1_3genE9ELNS1_11target_archE1100ELNS1_3gpuE3ELNS1_3repE0EEENS1_30default_config_static_selectorELNS0_4arch9wavefront6targetE0EEEvSM_,@function
_ZN7rocprim17ROCPRIM_400000_NS6detail17trampoline_kernelINS0_14default_configENS1_22reduce_config_selectorIfEEZNS1_11reduce_implILb1ES3_N6thrust23THRUST_200600_302600_NS11hip_rocprim26transform_input_iterator_tIfNS8_17counting_iteratorIiNS8_11use_defaultESC_SC_EE11estimate_piEEPffNS8_4plusIfEEEE10hipError_tPvRmT1_T2_T3_mT4_P12ihipStream_tbEUlT_E0_NS1_11comp_targetILNS1_3genE9ELNS1_11target_archE1100ELNS1_3gpuE3ELNS1_3repE0EEENS1_30default_config_static_selectorELNS0_4arch9wavefront6targetE0EEEvSM_: ; @_ZN7rocprim17ROCPRIM_400000_NS6detail17trampoline_kernelINS0_14default_configENS1_22reduce_config_selectorIfEEZNS1_11reduce_implILb1ES3_N6thrust23THRUST_200600_302600_NS11hip_rocprim26transform_input_iterator_tIfNS8_17counting_iteratorIiNS8_11use_defaultESC_SC_EE11estimate_piEEPffNS8_4plusIfEEEE10hipError_tPvRmT1_T2_T3_mT4_P12ihipStream_tbEUlT_E0_NS1_11comp_targetILNS1_3genE9ELNS1_11target_archE1100ELNS1_3gpuE3ELNS1_3repE0EEENS1_30default_config_static_selectorELNS0_4arch9wavefront6targetE0EEEvSM_
; %bb.0:
	.section	.rodata,"a",@progbits
	.p2align	6, 0x0
	.amdhsa_kernel _ZN7rocprim17ROCPRIM_400000_NS6detail17trampoline_kernelINS0_14default_configENS1_22reduce_config_selectorIfEEZNS1_11reduce_implILb1ES3_N6thrust23THRUST_200600_302600_NS11hip_rocprim26transform_input_iterator_tIfNS8_17counting_iteratorIiNS8_11use_defaultESC_SC_EE11estimate_piEEPffNS8_4plusIfEEEE10hipError_tPvRmT1_T2_T3_mT4_P12ihipStream_tbEUlT_E0_NS1_11comp_targetILNS1_3genE9ELNS1_11target_archE1100ELNS1_3gpuE3ELNS1_3repE0EEENS1_30default_config_static_selectorELNS0_4arch9wavefront6targetE0EEEvSM_
		.amdhsa_group_segment_fixed_size 0
		.amdhsa_private_segment_fixed_size 0
		.amdhsa_kernarg_size 56
		.amdhsa_user_sgpr_count 2
		.amdhsa_user_sgpr_dispatch_ptr 0
		.amdhsa_user_sgpr_queue_ptr 0
		.amdhsa_user_sgpr_kernarg_segment_ptr 1
		.amdhsa_user_sgpr_dispatch_id 0
		.amdhsa_user_sgpr_kernarg_preload_length 0
		.amdhsa_user_sgpr_kernarg_preload_offset 0
		.amdhsa_user_sgpr_private_segment_size 0
		.amdhsa_wavefront_size32 1
		.amdhsa_uses_dynamic_stack 0
		.amdhsa_enable_private_segment 0
		.amdhsa_system_sgpr_workgroup_id_x 1
		.amdhsa_system_sgpr_workgroup_id_y 0
		.amdhsa_system_sgpr_workgroup_id_z 0
		.amdhsa_system_sgpr_workgroup_info 0
		.amdhsa_system_vgpr_workitem_id 0
		.amdhsa_next_free_vgpr 1
		.amdhsa_next_free_sgpr 1
		.amdhsa_named_barrier_count 0
		.amdhsa_reserve_vcc 0
		.amdhsa_float_round_mode_32 0
		.amdhsa_float_round_mode_16_64 0
		.amdhsa_float_denorm_mode_32 3
		.amdhsa_float_denorm_mode_16_64 3
		.amdhsa_fp16_overflow 0
		.amdhsa_memory_ordered 1
		.amdhsa_forward_progress 1
		.amdhsa_inst_pref_size 0
		.amdhsa_round_robin_scheduling 0
		.amdhsa_exception_fp_ieee_invalid_op 0
		.amdhsa_exception_fp_denorm_src 0
		.amdhsa_exception_fp_ieee_div_zero 0
		.amdhsa_exception_fp_ieee_overflow 0
		.amdhsa_exception_fp_ieee_underflow 0
		.amdhsa_exception_fp_ieee_inexact 0
		.amdhsa_exception_int_div_zero 0
	.end_amdhsa_kernel
	.section	.text._ZN7rocprim17ROCPRIM_400000_NS6detail17trampoline_kernelINS0_14default_configENS1_22reduce_config_selectorIfEEZNS1_11reduce_implILb1ES3_N6thrust23THRUST_200600_302600_NS11hip_rocprim26transform_input_iterator_tIfNS8_17counting_iteratorIiNS8_11use_defaultESC_SC_EE11estimate_piEEPffNS8_4plusIfEEEE10hipError_tPvRmT1_T2_T3_mT4_P12ihipStream_tbEUlT_E0_NS1_11comp_targetILNS1_3genE9ELNS1_11target_archE1100ELNS1_3gpuE3ELNS1_3repE0EEENS1_30default_config_static_selectorELNS0_4arch9wavefront6targetE0EEEvSM_,"axG",@progbits,_ZN7rocprim17ROCPRIM_400000_NS6detail17trampoline_kernelINS0_14default_configENS1_22reduce_config_selectorIfEEZNS1_11reduce_implILb1ES3_N6thrust23THRUST_200600_302600_NS11hip_rocprim26transform_input_iterator_tIfNS8_17counting_iteratorIiNS8_11use_defaultESC_SC_EE11estimate_piEEPffNS8_4plusIfEEEE10hipError_tPvRmT1_T2_T3_mT4_P12ihipStream_tbEUlT_E0_NS1_11comp_targetILNS1_3genE9ELNS1_11target_archE1100ELNS1_3gpuE3ELNS1_3repE0EEENS1_30default_config_static_selectorELNS0_4arch9wavefront6targetE0EEEvSM_,comdat
.Lfunc_end25:
	.size	_ZN7rocprim17ROCPRIM_400000_NS6detail17trampoline_kernelINS0_14default_configENS1_22reduce_config_selectorIfEEZNS1_11reduce_implILb1ES3_N6thrust23THRUST_200600_302600_NS11hip_rocprim26transform_input_iterator_tIfNS8_17counting_iteratorIiNS8_11use_defaultESC_SC_EE11estimate_piEEPffNS8_4plusIfEEEE10hipError_tPvRmT1_T2_T3_mT4_P12ihipStream_tbEUlT_E0_NS1_11comp_targetILNS1_3genE9ELNS1_11target_archE1100ELNS1_3gpuE3ELNS1_3repE0EEENS1_30default_config_static_selectorELNS0_4arch9wavefront6targetE0EEEvSM_, .Lfunc_end25-_ZN7rocprim17ROCPRIM_400000_NS6detail17trampoline_kernelINS0_14default_configENS1_22reduce_config_selectorIfEEZNS1_11reduce_implILb1ES3_N6thrust23THRUST_200600_302600_NS11hip_rocprim26transform_input_iterator_tIfNS8_17counting_iteratorIiNS8_11use_defaultESC_SC_EE11estimate_piEEPffNS8_4plusIfEEEE10hipError_tPvRmT1_T2_T3_mT4_P12ihipStream_tbEUlT_E0_NS1_11comp_targetILNS1_3genE9ELNS1_11target_archE1100ELNS1_3gpuE3ELNS1_3repE0EEENS1_30default_config_static_selectorELNS0_4arch9wavefront6targetE0EEEvSM_
                                        ; -- End function
	.set _ZN7rocprim17ROCPRIM_400000_NS6detail17trampoline_kernelINS0_14default_configENS1_22reduce_config_selectorIfEEZNS1_11reduce_implILb1ES3_N6thrust23THRUST_200600_302600_NS11hip_rocprim26transform_input_iterator_tIfNS8_17counting_iteratorIiNS8_11use_defaultESC_SC_EE11estimate_piEEPffNS8_4plusIfEEEE10hipError_tPvRmT1_T2_T3_mT4_P12ihipStream_tbEUlT_E0_NS1_11comp_targetILNS1_3genE9ELNS1_11target_archE1100ELNS1_3gpuE3ELNS1_3repE0EEENS1_30default_config_static_selectorELNS0_4arch9wavefront6targetE0EEEvSM_.num_vgpr, 0
	.set _ZN7rocprim17ROCPRIM_400000_NS6detail17trampoline_kernelINS0_14default_configENS1_22reduce_config_selectorIfEEZNS1_11reduce_implILb1ES3_N6thrust23THRUST_200600_302600_NS11hip_rocprim26transform_input_iterator_tIfNS8_17counting_iteratorIiNS8_11use_defaultESC_SC_EE11estimate_piEEPffNS8_4plusIfEEEE10hipError_tPvRmT1_T2_T3_mT4_P12ihipStream_tbEUlT_E0_NS1_11comp_targetILNS1_3genE9ELNS1_11target_archE1100ELNS1_3gpuE3ELNS1_3repE0EEENS1_30default_config_static_selectorELNS0_4arch9wavefront6targetE0EEEvSM_.num_agpr, 0
	.set _ZN7rocprim17ROCPRIM_400000_NS6detail17trampoline_kernelINS0_14default_configENS1_22reduce_config_selectorIfEEZNS1_11reduce_implILb1ES3_N6thrust23THRUST_200600_302600_NS11hip_rocprim26transform_input_iterator_tIfNS8_17counting_iteratorIiNS8_11use_defaultESC_SC_EE11estimate_piEEPffNS8_4plusIfEEEE10hipError_tPvRmT1_T2_T3_mT4_P12ihipStream_tbEUlT_E0_NS1_11comp_targetILNS1_3genE9ELNS1_11target_archE1100ELNS1_3gpuE3ELNS1_3repE0EEENS1_30default_config_static_selectorELNS0_4arch9wavefront6targetE0EEEvSM_.numbered_sgpr, 0
	.set _ZN7rocprim17ROCPRIM_400000_NS6detail17trampoline_kernelINS0_14default_configENS1_22reduce_config_selectorIfEEZNS1_11reduce_implILb1ES3_N6thrust23THRUST_200600_302600_NS11hip_rocprim26transform_input_iterator_tIfNS8_17counting_iteratorIiNS8_11use_defaultESC_SC_EE11estimate_piEEPffNS8_4plusIfEEEE10hipError_tPvRmT1_T2_T3_mT4_P12ihipStream_tbEUlT_E0_NS1_11comp_targetILNS1_3genE9ELNS1_11target_archE1100ELNS1_3gpuE3ELNS1_3repE0EEENS1_30default_config_static_selectorELNS0_4arch9wavefront6targetE0EEEvSM_.num_named_barrier, 0
	.set _ZN7rocprim17ROCPRIM_400000_NS6detail17trampoline_kernelINS0_14default_configENS1_22reduce_config_selectorIfEEZNS1_11reduce_implILb1ES3_N6thrust23THRUST_200600_302600_NS11hip_rocprim26transform_input_iterator_tIfNS8_17counting_iteratorIiNS8_11use_defaultESC_SC_EE11estimate_piEEPffNS8_4plusIfEEEE10hipError_tPvRmT1_T2_T3_mT4_P12ihipStream_tbEUlT_E0_NS1_11comp_targetILNS1_3genE9ELNS1_11target_archE1100ELNS1_3gpuE3ELNS1_3repE0EEENS1_30default_config_static_selectorELNS0_4arch9wavefront6targetE0EEEvSM_.private_seg_size, 0
	.set _ZN7rocprim17ROCPRIM_400000_NS6detail17trampoline_kernelINS0_14default_configENS1_22reduce_config_selectorIfEEZNS1_11reduce_implILb1ES3_N6thrust23THRUST_200600_302600_NS11hip_rocprim26transform_input_iterator_tIfNS8_17counting_iteratorIiNS8_11use_defaultESC_SC_EE11estimate_piEEPffNS8_4plusIfEEEE10hipError_tPvRmT1_T2_T3_mT4_P12ihipStream_tbEUlT_E0_NS1_11comp_targetILNS1_3genE9ELNS1_11target_archE1100ELNS1_3gpuE3ELNS1_3repE0EEENS1_30default_config_static_selectorELNS0_4arch9wavefront6targetE0EEEvSM_.uses_vcc, 0
	.set _ZN7rocprim17ROCPRIM_400000_NS6detail17trampoline_kernelINS0_14default_configENS1_22reduce_config_selectorIfEEZNS1_11reduce_implILb1ES3_N6thrust23THRUST_200600_302600_NS11hip_rocprim26transform_input_iterator_tIfNS8_17counting_iteratorIiNS8_11use_defaultESC_SC_EE11estimate_piEEPffNS8_4plusIfEEEE10hipError_tPvRmT1_T2_T3_mT4_P12ihipStream_tbEUlT_E0_NS1_11comp_targetILNS1_3genE9ELNS1_11target_archE1100ELNS1_3gpuE3ELNS1_3repE0EEENS1_30default_config_static_selectorELNS0_4arch9wavefront6targetE0EEEvSM_.uses_flat_scratch, 0
	.set _ZN7rocprim17ROCPRIM_400000_NS6detail17trampoline_kernelINS0_14default_configENS1_22reduce_config_selectorIfEEZNS1_11reduce_implILb1ES3_N6thrust23THRUST_200600_302600_NS11hip_rocprim26transform_input_iterator_tIfNS8_17counting_iteratorIiNS8_11use_defaultESC_SC_EE11estimate_piEEPffNS8_4plusIfEEEE10hipError_tPvRmT1_T2_T3_mT4_P12ihipStream_tbEUlT_E0_NS1_11comp_targetILNS1_3genE9ELNS1_11target_archE1100ELNS1_3gpuE3ELNS1_3repE0EEENS1_30default_config_static_selectorELNS0_4arch9wavefront6targetE0EEEvSM_.has_dyn_sized_stack, 0
	.set _ZN7rocprim17ROCPRIM_400000_NS6detail17trampoline_kernelINS0_14default_configENS1_22reduce_config_selectorIfEEZNS1_11reduce_implILb1ES3_N6thrust23THRUST_200600_302600_NS11hip_rocprim26transform_input_iterator_tIfNS8_17counting_iteratorIiNS8_11use_defaultESC_SC_EE11estimate_piEEPffNS8_4plusIfEEEE10hipError_tPvRmT1_T2_T3_mT4_P12ihipStream_tbEUlT_E0_NS1_11comp_targetILNS1_3genE9ELNS1_11target_archE1100ELNS1_3gpuE3ELNS1_3repE0EEENS1_30default_config_static_selectorELNS0_4arch9wavefront6targetE0EEEvSM_.has_recursion, 0
	.set _ZN7rocprim17ROCPRIM_400000_NS6detail17trampoline_kernelINS0_14default_configENS1_22reduce_config_selectorIfEEZNS1_11reduce_implILb1ES3_N6thrust23THRUST_200600_302600_NS11hip_rocprim26transform_input_iterator_tIfNS8_17counting_iteratorIiNS8_11use_defaultESC_SC_EE11estimate_piEEPffNS8_4plusIfEEEE10hipError_tPvRmT1_T2_T3_mT4_P12ihipStream_tbEUlT_E0_NS1_11comp_targetILNS1_3genE9ELNS1_11target_archE1100ELNS1_3gpuE3ELNS1_3repE0EEENS1_30default_config_static_selectorELNS0_4arch9wavefront6targetE0EEEvSM_.has_indirect_call, 0
	.section	.AMDGPU.csdata,"",@progbits
; Kernel info:
; codeLenInByte = 0
; TotalNumSgprs: 0
; NumVgprs: 0
; ScratchSize: 0
; MemoryBound: 0
; FloatMode: 240
; IeeeMode: 1
; LDSByteSize: 0 bytes/workgroup (compile time only)
; SGPRBlocks: 0
; VGPRBlocks: 0
; NumSGPRsForWavesPerEU: 1
; NumVGPRsForWavesPerEU: 1
; NamedBarCnt: 0
; Occupancy: 16
; WaveLimiterHint : 0
; COMPUTE_PGM_RSRC2:SCRATCH_EN: 0
; COMPUTE_PGM_RSRC2:USER_SGPR: 2
; COMPUTE_PGM_RSRC2:TRAP_HANDLER: 0
; COMPUTE_PGM_RSRC2:TGID_X_EN: 1
; COMPUTE_PGM_RSRC2:TGID_Y_EN: 0
; COMPUTE_PGM_RSRC2:TGID_Z_EN: 0
; COMPUTE_PGM_RSRC2:TIDIG_COMP_CNT: 0
	.section	.text._ZN7rocprim17ROCPRIM_400000_NS6detail17trampoline_kernelINS0_14default_configENS1_22reduce_config_selectorIfEEZNS1_11reduce_implILb1ES3_N6thrust23THRUST_200600_302600_NS11hip_rocprim26transform_input_iterator_tIfNS8_17counting_iteratorIiNS8_11use_defaultESC_SC_EE11estimate_piEEPffNS8_4plusIfEEEE10hipError_tPvRmT1_T2_T3_mT4_P12ihipStream_tbEUlT_E0_NS1_11comp_targetILNS1_3genE8ELNS1_11target_archE1030ELNS1_3gpuE2ELNS1_3repE0EEENS1_30default_config_static_selectorELNS0_4arch9wavefront6targetE0EEEvSM_,"axG",@progbits,_ZN7rocprim17ROCPRIM_400000_NS6detail17trampoline_kernelINS0_14default_configENS1_22reduce_config_selectorIfEEZNS1_11reduce_implILb1ES3_N6thrust23THRUST_200600_302600_NS11hip_rocprim26transform_input_iterator_tIfNS8_17counting_iteratorIiNS8_11use_defaultESC_SC_EE11estimate_piEEPffNS8_4plusIfEEEE10hipError_tPvRmT1_T2_T3_mT4_P12ihipStream_tbEUlT_E0_NS1_11comp_targetILNS1_3genE8ELNS1_11target_archE1030ELNS1_3gpuE2ELNS1_3repE0EEENS1_30default_config_static_selectorELNS0_4arch9wavefront6targetE0EEEvSM_,comdat
	.protected	_ZN7rocprim17ROCPRIM_400000_NS6detail17trampoline_kernelINS0_14default_configENS1_22reduce_config_selectorIfEEZNS1_11reduce_implILb1ES3_N6thrust23THRUST_200600_302600_NS11hip_rocprim26transform_input_iterator_tIfNS8_17counting_iteratorIiNS8_11use_defaultESC_SC_EE11estimate_piEEPffNS8_4plusIfEEEE10hipError_tPvRmT1_T2_T3_mT4_P12ihipStream_tbEUlT_E0_NS1_11comp_targetILNS1_3genE8ELNS1_11target_archE1030ELNS1_3gpuE2ELNS1_3repE0EEENS1_30default_config_static_selectorELNS0_4arch9wavefront6targetE0EEEvSM_ ; -- Begin function _ZN7rocprim17ROCPRIM_400000_NS6detail17trampoline_kernelINS0_14default_configENS1_22reduce_config_selectorIfEEZNS1_11reduce_implILb1ES3_N6thrust23THRUST_200600_302600_NS11hip_rocprim26transform_input_iterator_tIfNS8_17counting_iteratorIiNS8_11use_defaultESC_SC_EE11estimate_piEEPffNS8_4plusIfEEEE10hipError_tPvRmT1_T2_T3_mT4_P12ihipStream_tbEUlT_E0_NS1_11comp_targetILNS1_3genE8ELNS1_11target_archE1030ELNS1_3gpuE2ELNS1_3repE0EEENS1_30default_config_static_selectorELNS0_4arch9wavefront6targetE0EEEvSM_
	.globl	_ZN7rocprim17ROCPRIM_400000_NS6detail17trampoline_kernelINS0_14default_configENS1_22reduce_config_selectorIfEEZNS1_11reduce_implILb1ES3_N6thrust23THRUST_200600_302600_NS11hip_rocprim26transform_input_iterator_tIfNS8_17counting_iteratorIiNS8_11use_defaultESC_SC_EE11estimate_piEEPffNS8_4plusIfEEEE10hipError_tPvRmT1_T2_T3_mT4_P12ihipStream_tbEUlT_E0_NS1_11comp_targetILNS1_3genE8ELNS1_11target_archE1030ELNS1_3gpuE2ELNS1_3repE0EEENS1_30default_config_static_selectorELNS0_4arch9wavefront6targetE0EEEvSM_
	.p2align	8
	.type	_ZN7rocprim17ROCPRIM_400000_NS6detail17trampoline_kernelINS0_14default_configENS1_22reduce_config_selectorIfEEZNS1_11reduce_implILb1ES3_N6thrust23THRUST_200600_302600_NS11hip_rocprim26transform_input_iterator_tIfNS8_17counting_iteratorIiNS8_11use_defaultESC_SC_EE11estimate_piEEPffNS8_4plusIfEEEE10hipError_tPvRmT1_T2_T3_mT4_P12ihipStream_tbEUlT_E0_NS1_11comp_targetILNS1_3genE8ELNS1_11target_archE1030ELNS1_3gpuE2ELNS1_3repE0EEENS1_30default_config_static_selectorELNS0_4arch9wavefront6targetE0EEEvSM_,@function
_ZN7rocprim17ROCPRIM_400000_NS6detail17trampoline_kernelINS0_14default_configENS1_22reduce_config_selectorIfEEZNS1_11reduce_implILb1ES3_N6thrust23THRUST_200600_302600_NS11hip_rocprim26transform_input_iterator_tIfNS8_17counting_iteratorIiNS8_11use_defaultESC_SC_EE11estimate_piEEPffNS8_4plusIfEEEE10hipError_tPvRmT1_T2_T3_mT4_P12ihipStream_tbEUlT_E0_NS1_11comp_targetILNS1_3genE8ELNS1_11target_archE1030ELNS1_3gpuE2ELNS1_3repE0EEENS1_30default_config_static_selectorELNS0_4arch9wavefront6targetE0EEEvSM_: ; @_ZN7rocprim17ROCPRIM_400000_NS6detail17trampoline_kernelINS0_14default_configENS1_22reduce_config_selectorIfEEZNS1_11reduce_implILb1ES3_N6thrust23THRUST_200600_302600_NS11hip_rocprim26transform_input_iterator_tIfNS8_17counting_iteratorIiNS8_11use_defaultESC_SC_EE11estimate_piEEPffNS8_4plusIfEEEE10hipError_tPvRmT1_T2_T3_mT4_P12ihipStream_tbEUlT_E0_NS1_11comp_targetILNS1_3genE8ELNS1_11target_archE1030ELNS1_3gpuE2ELNS1_3repE0EEENS1_30default_config_static_selectorELNS0_4arch9wavefront6targetE0EEEvSM_
; %bb.0:
	.section	.rodata,"a",@progbits
	.p2align	6, 0x0
	.amdhsa_kernel _ZN7rocprim17ROCPRIM_400000_NS6detail17trampoline_kernelINS0_14default_configENS1_22reduce_config_selectorIfEEZNS1_11reduce_implILb1ES3_N6thrust23THRUST_200600_302600_NS11hip_rocprim26transform_input_iterator_tIfNS8_17counting_iteratorIiNS8_11use_defaultESC_SC_EE11estimate_piEEPffNS8_4plusIfEEEE10hipError_tPvRmT1_T2_T3_mT4_P12ihipStream_tbEUlT_E0_NS1_11comp_targetILNS1_3genE8ELNS1_11target_archE1030ELNS1_3gpuE2ELNS1_3repE0EEENS1_30default_config_static_selectorELNS0_4arch9wavefront6targetE0EEEvSM_
		.amdhsa_group_segment_fixed_size 0
		.amdhsa_private_segment_fixed_size 0
		.amdhsa_kernarg_size 56
		.amdhsa_user_sgpr_count 2
		.amdhsa_user_sgpr_dispatch_ptr 0
		.amdhsa_user_sgpr_queue_ptr 0
		.amdhsa_user_sgpr_kernarg_segment_ptr 1
		.amdhsa_user_sgpr_dispatch_id 0
		.amdhsa_user_sgpr_kernarg_preload_length 0
		.amdhsa_user_sgpr_kernarg_preload_offset 0
		.amdhsa_user_sgpr_private_segment_size 0
		.amdhsa_wavefront_size32 1
		.amdhsa_uses_dynamic_stack 0
		.amdhsa_enable_private_segment 0
		.amdhsa_system_sgpr_workgroup_id_x 1
		.amdhsa_system_sgpr_workgroup_id_y 0
		.amdhsa_system_sgpr_workgroup_id_z 0
		.amdhsa_system_sgpr_workgroup_info 0
		.amdhsa_system_vgpr_workitem_id 0
		.amdhsa_next_free_vgpr 1
		.amdhsa_next_free_sgpr 1
		.amdhsa_named_barrier_count 0
		.amdhsa_reserve_vcc 0
		.amdhsa_float_round_mode_32 0
		.amdhsa_float_round_mode_16_64 0
		.amdhsa_float_denorm_mode_32 3
		.amdhsa_float_denorm_mode_16_64 3
		.amdhsa_fp16_overflow 0
		.amdhsa_memory_ordered 1
		.amdhsa_forward_progress 1
		.amdhsa_inst_pref_size 0
		.amdhsa_round_robin_scheduling 0
		.amdhsa_exception_fp_ieee_invalid_op 0
		.amdhsa_exception_fp_denorm_src 0
		.amdhsa_exception_fp_ieee_div_zero 0
		.amdhsa_exception_fp_ieee_overflow 0
		.amdhsa_exception_fp_ieee_underflow 0
		.amdhsa_exception_fp_ieee_inexact 0
		.amdhsa_exception_int_div_zero 0
	.end_amdhsa_kernel
	.section	.text._ZN7rocprim17ROCPRIM_400000_NS6detail17trampoline_kernelINS0_14default_configENS1_22reduce_config_selectorIfEEZNS1_11reduce_implILb1ES3_N6thrust23THRUST_200600_302600_NS11hip_rocprim26transform_input_iterator_tIfNS8_17counting_iteratorIiNS8_11use_defaultESC_SC_EE11estimate_piEEPffNS8_4plusIfEEEE10hipError_tPvRmT1_T2_T3_mT4_P12ihipStream_tbEUlT_E0_NS1_11comp_targetILNS1_3genE8ELNS1_11target_archE1030ELNS1_3gpuE2ELNS1_3repE0EEENS1_30default_config_static_selectorELNS0_4arch9wavefront6targetE0EEEvSM_,"axG",@progbits,_ZN7rocprim17ROCPRIM_400000_NS6detail17trampoline_kernelINS0_14default_configENS1_22reduce_config_selectorIfEEZNS1_11reduce_implILb1ES3_N6thrust23THRUST_200600_302600_NS11hip_rocprim26transform_input_iterator_tIfNS8_17counting_iteratorIiNS8_11use_defaultESC_SC_EE11estimate_piEEPffNS8_4plusIfEEEE10hipError_tPvRmT1_T2_T3_mT4_P12ihipStream_tbEUlT_E0_NS1_11comp_targetILNS1_3genE8ELNS1_11target_archE1030ELNS1_3gpuE2ELNS1_3repE0EEENS1_30default_config_static_selectorELNS0_4arch9wavefront6targetE0EEEvSM_,comdat
.Lfunc_end26:
	.size	_ZN7rocprim17ROCPRIM_400000_NS6detail17trampoline_kernelINS0_14default_configENS1_22reduce_config_selectorIfEEZNS1_11reduce_implILb1ES3_N6thrust23THRUST_200600_302600_NS11hip_rocprim26transform_input_iterator_tIfNS8_17counting_iteratorIiNS8_11use_defaultESC_SC_EE11estimate_piEEPffNS8_4plusIfEEEE10hipError_tPvRmT1_T2_T3_mT4_P12ihipStream_tbEUlT_E0_NS1_11comp_targetILNS1_3genE8ELNS1_11target_archE1030ELNS1_3gpuE2ELNS1_3repE0EEENS1_30default_config_static_selectorELNS0_4arch9wavefront6targetE0EEEvSM_, .Lfunc_end26-_ZN7rocprim17ROCPRIM_400000_NS6detail17trampoline_kernelINS0_14default_configENS1_22reduce_config_selectorIfEEZNS1_11reduce_implILb1ES3_N6thrust23THRUST_200600_302600_NS11hip_rocprim26transform_input_iterator_tIfNS8_17counting_iteratorIiNS8_11use_defaultESC_SC_EE11estimate_piEEPffNS8_4plusIfEEEE10hipError_tPvRmT1_T2_T3_mT4_P12ihipStream_tbEUlT_E0_NS1_11comp_targetILNS1_3genE8ELNS1_11target_archE1030ELNS1_3gpuE2ELNS1_3repE0EEENS1_30default_config_static_selectorELNS0_4arch9wavefront6targetE0EEEvSM_
                                        ; -- End function
	.set _ZN7rocprim17ROCPRIM_400000_NS6detail17trampoline_kernelINS0_14default_configENS1_22reduce_config_selectorIfEEZNS1_11reduce_implILb1ES3_N6thrust23THRUST_200600_302600_NS11hip_rocprim26transform_input_iterator_tIfNS8_17counting_iteratorIiNS8_11use_defaultESC_SC_EE11estimate_piEEPffNS8_4plusIfEEEE10hipError_tPvRmT1_T2_T3_mT4_P12ihipStream_tbEUlT_E0_NS1_11comp_targetILNS1_3genE8ELNS1_11target_archE1030ELNS1_3gpuE2ELNS1_3repE0EEENS1_30default_config_static_selectorELNS0_4arch9wavefront6targetE0EEEvSM_.num_vgpr, 0
	.set _ZN7rocprim17ROCPRIM_400000_NS6detail17trampoline_kernelINS0_14default_configENS1_22reduce_config_selectorIfEEZNS1_11reduce_implILb1ES3_N6thrust23THRUST_200600_302600_NS11hip_rocprim26transform_input_iterator_tIfNS8_17counting_iteratorIiNS8_11use_defaultESC_SC_EE11estimate_piEEPffNS8_4plusIfEEEE10hipError_tPvRmT1_T2_T3_mT4_P12ihipStream_tbEUlT_E0_NS1_11comp_targetILNS1_3genE8ELNS1_11target_archE1030ELNS1_3gpuE2ELNS1_3repE0EEENS1_30default_config_static_selectorELNS0_4arch9wavefront6targetE0EEEvSM_.num_agpr, 0
	.set _ZN7rocprim17ROCPRIM_400000_NS6detail17trampoline_kernelINS0_14default_configENS1_22reduce_config_selectorIfEEZNS1_11reduce_implILb1ES3_N6thrust23THRUST_200600_302600_NS11hip_rocprim26transform_input_iterator_tIfNS8_17counting_iteratorIiNS8_11use_defaultESC_SC_EE11estimate_piEEPffNS8_4plusIfEEEE10hipError_tPvRmT1_T2_T3_mT4_P12ihipStream_tbEUlT_E0_NS1_11comp_targetILNS1_3genE8ELNS1_11target_archE1030ELNS1_3gpuE2ELNS1_3repE0EEENS1_30default_config_static_selectorELNS0_4arch9wavefront6targetE0EEEvSM_.numbered_sgpr, 0
	.set _ZN7rocprim17ROCPRIM_400000_NS6detail17trampoline_kernelINS0_14default_configENS1_22reduce_config_selectorIfEEZNS1_11reduce_implILb1ES3_N6thrust23THRUST_200600_302600_NS11hip_rocprim26transform_input_iterator_tIfNS8_17counting_iteratorIiNS8_11use_defaultESC_SC_EE11estimate_piEEPffNS8_4plusIfEEEE10hipError_tPvRmT1_T2_T3_mT4_P12ihipStream_tbEUlT_E0_NS1_11comp_targetILNS1_3genE8ELNS1_11target_archE1030ELNS1_3gpuE2ELNS1_3repE0EEENS1_30default_config_static_selectorELNS0_4arch9wavefront6targetE0EEEvSM_.num_named_barrier, 0
	.set _ZN7rocprim17ROCPRIM_400000_NS6detail17trampoline_kernelINS0_14default_configENS1_22reduce_config_selectorIfEEZNS1_11reduce_implILb1ES3_N6thrust23THRUST_200600_302600_NS11hip_rocprim26transform_input_iterator_tIfNS8_17counting_iteratorIiNS8_11use_defaultESC_SC_EE11estimate_piEEPffNS8_4plusIfEEEE10hipError_tPvRmT1_T2_T3_mT4_P12ihipStream_tbEUlT_E0_NS1_11comp_targetILNS1_3genE8ELNS1_11target_archE1030ELNS1_3gpuE2ELNS1_3repE0EEENS1_30default_config_static_selectorELNS0_4arch9wavefront6targetE0EEEvSM_.private_seg_size, 0
	.set _ZN7rocprim17ROCPRIM_400000_NS6detail17trampoline_kernelINS0_14default_configENS1_22reduce_config_selectorIfEEZNS1_11reduce_implILb1ES3_N6thrust23THRUST_200600_302600_NS11hip_rocprim26transform_input_iterator_tIfNS8_17counting_iteratorIiNS8_11use_defaultESC_SC_EE11estimate_piEEPffNS8_4plusIfEEEE10hipError_tPvRmT1_T2_T3_mT4_P12ihipStream_tbEUlT_E0_NS1_11comp_targetILNS1_3genE8ELNS1_11target_archE1030ELNS1_3gpuE2ELNS1_3repE0EEENS1_30default_config_static_selectorELNS0_4arch9wavefront6targetE0EEEvSM_.uses_vcc, 0
	.set _ZN7rocprim17ROCPRIM_400000_NS6detail17trampoline_kernelINS0_14default_configENS1_22reduce_config_selectorIfEEZNS1_11reduce_implILb1ES3_N6thrust23THRUST_200600_302600_NS11hip_rocprim26transform_input_iterator_tIfNS8_17counting_iteratorIiNS8_11use_defaultESC_SC_EE11estimate_piEEPffNS8_4plusIfEEEE10hipError_tPvRmT1_T2_T3_mT4_P12ihipStream_tbEUlT_E0_NS1_11comp_targetILNS1_3genE8ELNS1_11target_archE1030ELNS1_3gpuE2ELNS1_3repE0EEENS1_30default_config_static_selectorELNS0_4arch9wavefront6targetE0EEEvSM_.uses_flat_scratch, 0
	.set _ZN7rocprim17ROCPRIM_400000_NS6detail17trampoline_kernelINS0_14default_configENS1_22reduce_config_selectorIfEEZNS1_11reduce_implILb1ES3_N6thrust23THRUST_200600_302600_NS11hip_rocprim26transform_input_iterator_tIfNS8_17counting_iteratorIiNS8_11use_defaultESC_SC_EE11estimate_piEEPffNS8_4plusIfEEEE10hipError_tPvRmT1_T2_T3_mT4_P12ihipStream_tbEUlT_E0_NS1_11comp_targetILNS1_3genE8ELNS1_11target_archE1030ELNS1_3gpuE2ELNS1_3repE0EEENS1_30default_config_static_selectorELNS0_4arch9wavefront6targetE0EEEvSM_.has_dyn_sized_stack, 0
	.set _ZN7rocprim17ROCPRIM_400000_NS6detail17trampoline_kernelINS0_14default_configENS1_22reduce_config_selectorIfEEZNS1_11reduce_implILb1ES3_N6thrust23THRUST_200600_302600_NS11hip_rocprim26transform_input_iterator_tIfNS8_17counting_iteratorIiNS8_11use_defaultESC_SC_EE11estimate_piEEPffNS8_4plusIfEEEE10hipError_tPvRmT1_T2_T3_mT4_P12ihipStream_tbEUlT_E0_NS1_11comp_targetILNS1_3genE8ELNS1_11target_archE1030ELNS1_3gpuE2ELNS1_3repE0EEENS1_30default_config_static_selectorELNS0_4arch9wavefront6targetE0EEEvSM_.has_recursion, 0
	.set _ZN7rocprim17ROCPRIM_400000_NS6detail17trampoline_kernelINS0_14default_configENS1_22reduce_config_selectorIfEEZNS1_11reduce_implILb1ES3_N6thrust23THRUST_200600_302600_NS11hip_rocprim26transform_input_iterator_tIfNS8_17counting_iteratorIiNS8_11use_defaultESC_SC_EE11estimate_piEEPffNS8_4plusIfEEEE10hipError_tPvRmT1_T2_T3_mT4_P12ihipStream_tbEUlT_E0_NS1_11comp_targetILNS1_3genE8ELNS1_11target_archE1030ELNS1_3gpuE2ELNS1_3repE0EEENS1_30default_config_static_selectorELNS0_4arch9wavefront6targetE0EEEvSM_.has_indirect_call, 0
	.section	.AMDGPU.csdata,"",@progbits
; Kernel info:
; codeLenInByte = 0
; TotalNumSgprs: 0
; NumVgprs: 0
; ScratchSize: 0
; MemoryBound: 0
; FloatMode: 240
; IeeeMode: 1
; LDSByteSize: 0 bytes/workgroup (compile time only)
; SGPRBlocks: 0
; VGPRBlocks: 0
; NumSGPRsForWavesPerEU: 1
; NumVGPRsForWavesPerEU: 1
; NamedBarCnt: 0
; Occupancy: 16
; WaveLimiterHint : 0
; COMPUTE_PGM_RSRC2:SCRATCH_EN: 0
; COMPUTE_PGM_RSRC2:USER_SGPR: 2
; COMPUTE_PGM_RSRC2:TRAP_HANDLER: 0
; COMPUTE_PGM_RSRC2:TGID_X_EN: 1
; COMPUTE_PGM_RSRC2:TGID_Y_EN: 0
; COMPUTE_PGM_RSRC2:TGID_Z_EN: 0
; COMPUTE_PGM_RSRC2:TIDIG_COMP_CNT: 0
	.section	.text._ZN7rocprim17ROCPRIM_400000_NS6detail17trampoline_kernelINS0_14default_configENS1_22reduce_config_selectorIfEEZNS1_11reduce_implILb1ES3_N6thrust23THRUST_200600_302600_NS11hip_rocprim26transform_input_iterator_tIfNS8_17counting_iteratorIiNS8_11use_defaultESC_SC_EE11estimate_piEEPffNS8_4plusIfEEEE10hipError_tPvRmT1_T2_T3_mT4_P12ihipStream_tbEUlT_E1_NS1_11comp_targetILNS1_3genE0ELNS1_11target_archE4294967295ELNS1_3gpuE0ELNS1_3repE0EEENS1_30default_config_static_selectorELNS0_4arch9wavefront6targetE0EEEvSM_,"axG",@progbits,_ZN7rocprim17ROCPRIM_400000_NS6detail17trampoline_kernelINS0_14default_configENS1_22reduce_config_selectorIfEEZNS1_11reduce_implILb1ES3_N6thrust23THRUST_200600_302600_NS11hip_rocprim26transform_input_iterator_tIfNS8_17counting_iteratorIiNS8_11use_defaultESC_SC_EE11estimate_piEEPffNS8_4plusIfEEEE10hipError_tPvRmT1_T2_T3_mT4_P12ihipStream_tbEUlT_E1_NS1_11comp_targetILNS1_3genE0ELNS1_11target_archE4294967295ELNS1_3gpuE0ELNS1_3repE0EEENS1_30default_config_static_selectorELNS0_4arch9wavefront6targetE0EEEvSM_,comdat
	.protected	_ZN7rocprim17ROCPRIM_400000_NS6detail17trampoline_kernelINS0_14default_configENS1_22reduce_config_selectorIfEEZNS1_11reduce_implILb1ES3_N6thrust23THRUST_200600_302600_NS11hip_rocprim26transform_input_iterator_tIfNS8_17counting_iteratorIiNS8_11use_defaultESC_SC_EE11estimate_piEEPffNS8_4plusIfEEEE10hipError_tPvRmT1_T2_T3_mT4_P12ihipStream_tbEUlT_E1_NS1_11comp_targetILNS1_3genE0ELNS1_11target_archE4294967295ELNS1_3gpuE0ELNS1_3repE0EEENS1_30default_config_static_selectorELNS0_4arch9wavefront6targetE0EEEvSM_ ; -- Begin function _ZN7rocprim17ROCPRIM_400000_NS6detail17trampoline_kernelINS0_14default_configENS1_22reduce_config_selectorIfEEZNS1_11reduce_implILb1ES3_N6thrust23THRUST_200600_302600_NS11hip_rocprim26transform_input_iterator_tIfNS8_17counting_iteratorIiNS8_11use_defaultESC_SC_EE11estimate_piEEPffNS8_4plusIfEEEE10hipError_tPvRmT1_T2_T3_mT4_P12ihipStream_tbEUlT_E1_NS1_11comp_targetILNS1_3genE0ELNS1_11target_archE4294967295ELNS1_3gpuE0ELNS1_3repE0EEENS1_30default_config_static_selectorELNS0_4arch9wavefront6targetE0EEEvSM_
	.globl	_ZN7rocprim17ROCPRIM_400000_NS6detail17trampoline_kernelINS0_14default_configENS1_22reduce_config_selectorIfEEZNS1_11reduce_implILb1ES3_N6thrust23THRUST_200600_302600_NS11hip_rocprim26transform_input_iterator_tIfNS8_17counting_iteratorIiNS8_11use_defaultESC_SC_EE11estimate_piEEPffNS8_4plusIfEEEE10hipError_tPvRmT1_T2_T3_mT4_P12ihipStream_tbEUlT_E1_NS1_11comp_targetILNS1_3genE0ELNS1_11target_archE4294967295ELNS1_3gpuE0ELNS1_3repE0EEENS1_30default_config_static_selectorELNS0_4arch9wavefront6targetE0EEEvSM_
	.p2align	8
	.type	_ZN7rocprim17ROCPRIM_400000_NS6detail17trampoline_kernelINS0_14default_configENS1_22reduce_config_selectorIfEEZNS1_11reduce_implILb1ES3_N6thrust23THRUST_200600_302600_NS11hip_rocprim26transform_input_iterator_tIfNS8_17counting_iteratorIiNS8_11use_defaultESC_SC_EE11estimate_piEEPffNS8_4plusIfEEEE10hipError_tPvRmT1_T2_T3_mT4_P12ihipStream_tbEUlT_E1_NS1_11comp_targetILNS1_3genE0ELNS1_11target_archE4294967295ELNS1_3gpuE0ELNS1_3repE0EEENS1_30default_config_static_selectorELNS0_4arch9wavefront6targetE0EEEvSM_,@function
_ZN7rocprim17ROCPRIM_400000_NS6detail17trampoline_kernelINS0_14default_configENS1_22reduce_config_selectorIfEEZNS1_11reduce_implILb1ES3_N6thrust23THRUST_200600_302600_NS11hip_rocprim26transform_input_iterator_tIfNS8_17counting_iteratorIiNS8_11use_defaultESC_SC_EE11estimate_piEEPffNS8_4plusIfEEEE10hipError_tPvRmT1_T2_T3_mT4_P12ihipStream_tbEUlT_E1_NS1_11comp_targetILNS1_3genE0ELNS1_11target_archE4294967295ELNS1_3gpuE0ELNS1_3repE0EEENS1_30default_config_static_selectorELNS0_4arch9wavefront6targetE0EEEvSM_: ; @_ZN7rocprim17ROCPRIM_400000_NS6detail17trampoline_kernelINS0_14default_configENS1_22reduce_config_selectorIfEEZNS1_11reduce_implILb1ES3_N6thrust23THRUST_200600_302600_NS11hip_rocprim26transform_input_iterator_tIfNS8_17counting_iteratorIiNS8_11use_defaultESC_SC_EE11estimate_piEEPffNS8_4plusIfEEEE10hipError_tPvRmT1_T2_T3_mT4_P12ihipStream_tbEUlT_E1_NS1_11comp_targetILNS1_3genE0ELNS1_11target_archE4294967295ELNS1_3gpuE0ELNS1_3repE0EEENS1_30default_config_static_selectorELNS0_4arch9wavefront6targetE0EEEvSM_
; %bb.0:
	s_clause 0x1
	s_load_b64 s[42:43], s[0:1], 0x4
	s_load_b128 s[36:39], s[0:1], 0x10
	s_wait_kmcnt 0x0
	s_cmp_lt_i32 s42, 8
	s_cbranch_scc1 .LBB27_75
; %bb.1:
	s_cmp_gt_i32 s42, 15
	s_cbranch_scc0 .LBB27_76
; %bb.2:
	s_cmp_gt_i32 s42, 31
	s_cbranch_scc0 .LBB27_77
; %bb.3:
	s_cmp_eq_u32 s42, 32
	s_mov_b32 s45, 0
	s_cbranch_scc0 .LBB27_78
; %bb.4:
	s_bfe_u32 s2, ttmp6, 0x4000c
	s_and_b32 s3, ttmp6, 15
	s_add_co_i32 s2, s2, 1
	s_getreg_b32 s4, hwreg(HW_REG_IB_STS2, 6, 4)
	s_mul_i32 s2, ttmp9, s2
	s_mov_b32 s41, 0
	s_add_co_i32 s3, s3, s2
	s_cmp_eq_u32 s4, 0
	s_cselect_b32 s40, ttmp9, s3
	s_lshr_b64 s[2:3], s[36:37], 13
	s_lshl_b32 s6, s40, 13
	s_delay_alu instid0(SALU_CYCLE_1)
	s_add_co_i32 s35, s43, s6
	s_cmp_lg_u64 s[2:3], s[40:41]
	s_cbranch_scc0 .LBB27_119
; %bb.5:
	v_add_nc_u32_e32 v2, s35, v0
	s_movk_i32 s5, 0x2710
	s_brev_b32 s4, 12
	s_delay_alu instid0(VALU_DEP_1) | instskip(NEXT) | instid1(VALU_DEP_1)
	v_lshlrev_b32_e32 v1, 12, v2
	v_add3_u32 v1, v2, v1, 0x7ed55d16
	s_delay_alu instid0(VALU_DEP_1) | instskip(NEXT) | instid1(VALU_DEP_1)
	v_lshrrev_b32_e32 v3, 19, v1
	v_xor3_b32 v1, v1, v3, 0xc761c23c
	s_delay_alu instid0(VALU_DEP_1) | instskip(NEXT) | instid1(VALU_DEP_1)
	v_lshl_add_u32 v1, v1, 5, v1
	v_add_nc_u32_e32 v3, 0xe9f8cc1d, v1
	v_lshl_add_u32 v1, v1, 9, 0xaccf6200
	s_delay_alu instid0(VALU_DEP_1) | instskip(NEXT) | instid1(VALU_DEP_1)
	v_xor_b32_e32 v1, v3, v1
	v_lshlrev_b32_e32 v3, 3, v1
	s_delay_alu instid0(VALU_DEP_1) | instskip(NEXT) | instid1(VALU_DEP_1)
	v_add3_u32 v1, v1, v3, 0xfd7046c5
	v_lshrrev_b32_e32 v3, 16, v1
	s_delay_alu instid0(VALU_DEP_1) | instskip(NEXT) | instid1(VALU_DEP_1)
	v_xor3_b32 v1, v1, v3, 0xb55a4f09
	v_mul_hi_u32 v3, v1, 3
	s_delay_alu instid0(VALU_DEP_1) | instskip(NEXT) | instid1(VALU_DEP_1)
	v_sub_nc_u32_e32 v4, v1, v3
	v_lshrrev_b32_e32 v4, 1, v4
	s_delay_alu instid0(VALU_DEP_1) | instskip(NEXT) | instid1(VALU_DEP_1)
	v_add_nc_u32_e32 v3, v4, v3
	v_lshrrev_b32_e32 v3, 30, v3
	s_delay_alu instid0(VALU_DEP_1) | instskip(NEXT) | instid1(VALU_DEP_1)
	v_mul_lo_u32 v3, 0x7fffffff, v3
	v_sub_nc_u32_e32 v1, v1, v3
	s_delay_alu instid0(VALU_DEP_1)
	v_max_u32_e32 v3, 1, v1
	v_mov_b32_e32 v1, 0
.LBB27_6:                               ; =>This Inner Loop Header: Depth=1
	s_delay_alu instid0(VALU_DEP_2) | instskip(NEXT) | instid1(VALU_DEP_1)
	v_mul_hi_u32 v4, 0xbc8f1391, v3
	v_lshrrev_b32_e32 v4, 15, v4
	s_delay_alu instid0(VALU_DEP_1) | instskip(NEXT) | instid1(VALU_DEP_1)
	v_mul_u32_u24_e32 v5, 0xadc8, v4
	v_sub_nc_u32_e32 v3, v3, v5
	v_mul_u32_u24_e32 v4, 0xd47, v4
	s_delay_alu instid0(VALU_DEP_2) | instskip(NEXT) | instid1(VALU_DEP_2)
	v_mul_lo_u32 v3, 0xbc8f, v3
	v_xor_b32_e32 v5, 0x7fffffff, v4
	v_sub_nc_u32_e32 v6, 0, v4
	s_delay_alu instid0(VALU_DEP_3) | instskip(NEXT) | instid1(VALU_DEP_2)
	v_cmp_lt_u32_e32 vcc_lo, v3, v4
	v_cndmask_b32_e32 v4, v6, v5, vcc_lo
	s_delay_alu instid0(VALU_DEP_1) | instskip(NEXT) | instid1(VALU_DEP_1)
	v_add_nc_u32_e32 v3, v4, v3
	v_mul_hi_u32 v4, 0xbc8f1391, v3
	s_delay_alu instid0(VALU_DEP_1) | instskip(NEXT) | instid1(VALU_DEP_1)
	v_lshrrev_b32_e32 v4, 15, v4
	v_mul_u32_u24_e32 v5, 0xadc8, v4
	v_mul_u32_u24_e32 v4, 0xd47, v4
	s_delay_alu instid0(VALU_DEP_2) | instskip(NEXT) | instid1(VALU_DEP_2)
	v_sub_nc_u32_e32 v5, v3, v5
	v_xor_b32_e32 v6, 0x7fffffff, v4
	v_add_nc_u32_e32 v3, -1, v3
	s_delay_alu instid0(VALU_DEP_3) | instskip(SKIP_1) | instid1(VALU_DEP_2)
	v_mul_lo_u32 v5, 0xbc8f, v5
	v_sub_nc_u32_e32 v7, 0, v4
	v_cmp_lt_u32_e32 vcc_lo, v5, v4
	s_delay_alu instid0(VALU_DEP_2) | instskip(NEXT) | instid1(VALU_DEP_1)
	v_cndmask_b32_e32 v4, v7, v6, vcc_lo
	v_add_nc_u32_e32 v5, v4, v5
	s_delay_alu instid0(VALU_DEP_1) | instskip(NEXT) | instid1(VALU_DEP_1)
	v_mul_hi_u32 v4, 0xbc8f1391, v5
	v_lshrrev_b32_e32 v4, 15, v4
	s_delay_alu instid0(VALU_DEP_1) | instskip(SKIP_1) | instid1(VALU_DEP_2)
	v_mul_u32_u24_e32 v6, 0xadc8, v4
	v_mul_u32_u24_e32 v4, 0xd47, v4
	v_sub_nc_u32_e32 v6, v5, v6
	s_delay_alu instid0(VALU_DEP_2) | instskip(NEXT) | instid1(VALU_DEP_2)
	v_xor_b32_e32 v7, 0x7fffffff, v4
	v_mul_lo_u32 v6, 0xbc8f, v6
	v_sub_nc_u32_e32 v8, 0, v4
	s_delay_alu instid0(VALU_DEP_2) | instskip(NEXT) | instid1(VALU_DEP_2)
	v_cmp_lt_u32_e32 vcc_lo, v6, v4
	v_dual_cndmask_b32 v4, v8, v7, vcc_lo :: v_dual_add_f32 v8, 1.0, v1
	s_delay_alu instid0(VALU_DEP_1) | instskip(NEXT) | instid1(VALU_DEP_1)
	v_add_nc_u32_e32 v6, v4, v6
	v_mul_hi_u32 v4, 0xbc8f1391, v6
	s_delay_alu instid0(VALU_DEP_1) | instskip(NEXT) | instid1(VALU_DEP_1)
	v_lshrrev_b32_e32 v4, 15, v4
	v_mul_u32_u24_e32 v7, 0xadc8, v4
	v_mul_u32_u24_e32 v9, 0xd47, v4
	v_cvt_f32_u32_e32 v4, v3
	s_delay_alu instid0(VALU_DEP_3) | instskip(NEXT) | instid1(VALU_DEP_3)
	v_sub_nc_u32_e32 v7, v6, v7
	v_xor_b32_e32 v3, 0x7fffffff, v9
	v_dual_sub_nc_u32 v10, 0, v9 :: v_dual_add_nc_u32 v6, -1, v6
	s_delay_alu instid0(VALU_DEP_3) | instskip(NEXT) | instid1(VALU_DEP_2)
	v_mul_lo_u32 v7, 0xbc8f, v7
	v_cvt_f32_u32_e32 v6, v6
	s_delay_alu instid0(VALU_DEP_2) | instskip(NEXT) | instid1(VALU_DEP_4)
	v_cmp_lt_u32_e32 vcc_lo, v7, v9
	v_dual_add_nc_u32 v5, -1, v5 :: v_dual_cndmask_b32 v3, v10, v3, vcc_lo
	s_delay_alu instid0(VALU_DEP_1) | instskip(NEXT) | instid1(VALU_DEP_2)
	v_cvt_f32_u32_e32 v5, v5
	v_add_nc_u32_e32 v3, v3, v7
	s_delay_alu instid0(VALU_DEP_2) | instskip(NEXT) | instid1(VALU_DEP_1)
	v_pk_fma_f32 v[4:5], v[4:5], s[4:5], 0 op_sel_hi:[1,0,0]
	v_pk_mul_f32 v[4:5], v[4:5], v[4:5]
	s_delay_alu instid0(VALU_DEP_1) | instskip(NEXT) | instid1(VALU_DEP_1)
	v_dual_add_nc_u32 v7, -1, v3 :: v_dual_add_f32 v9, v4, v5
	v_cvt_f32_u32_e32 v7, v7
	s_delay_alu instid0(VALU_DEP_2) | instskip(NEXT) | instid1(VALU_DEP_2)
	v_cmp_gt_f32_e32 vcc_lo, 0xf800000, v9
	v_pk_fma_f32 v[4:5], v[6:7], s[4:5], 0 op_sel_hi:[1,0,0]
	s_add_co_i32 s5, s5, -2
	s_delay_alu instid0(SALU_CYCLE_1) | instskip(NEXT) | instid1(VALU_DEP_1)
	s_cmp_lg_u32 s5, 0
	v_pk_mul_f32 v[4:5], v[4:5], v[4:5]
	s_delay_alu instid0(VALU_DEP_1) | instskip(NEXT) | instid1(VALU_DEP_1)
	v_add_f32_e32 v4, v4, v5
	v_dual_mul_f32 v6, 0x4f800000, v9 :: v_dual_mul_f32 v7, 0x4f800000, v4
	s_delay_alu instid0(VALU_DEP_1) | instskip(SKIP_1) | instid1(VALU_DEP_2)
	v_cndmask_b32_e32 v6, v9, v6, vcc_lo
	v_cmp_gt_f32_e64 s2, 0xf800000, v4
	v_sqrt_f32_e32 v5, v6
	v_nop
	s_delay_alu instid0(TRANS32_DEP_1) | instskip(NEXT) | instid1(VALU_DEP_1)
	v_dual_add_nc_u32 v9, -1, v5 :: v_dual_cndmask_b32 v4, v4, v7, s2
	v_dual_add_nc_u32 v7, 1, v5 :: v_dual_fma_f32 v10, -v9, v5, v6
	s_delay_alu instid0(VALU_DEP_2) | instskip(NEXT) | instid1(VALU_DEP_1)
	v_sqrt_f32_e32 v11, v4
	v_fma_f32 v12, -v7, v5, v6
	s_delay_alu instid0(VALU_DEP_2)
	v_cmp_ge_f32_e64 s3, 0, v10
	s_delay_alu instid0(TRANS32_DEP_1) | instid1(VALU_DEP_1)
	v_dual_cndmask_b32 v5, v5, v9, s3 :: v_dual_add_nc_u32 v9, -1, v11
	s_delay_alu instid0(VALU_DEP_3) | instskip(NEXT) | instid1(VALU_DEP_1)
	v_cmp_lt_f32_e64 s3, 0, v12
	v_cndmask_b32_e64 v5, v5, v7, s3
	s_delay_alu instid0(VALU_DEP_3) | instskip(NEXT) | instid1(VALU_DEP_1)
	v_dual_add_nc_u32 v7, 1, v11 :: v_dual_fma_f32 v10, -v9, v11, v4
	v_fma_f32 v13, -v7, v11, v4
	s_delay_alu instid0(VALU_DEP_2) | instskip(NEXT) | instid1(VALU_DEP_1)
	v_cmp_ge_f32_e64 s3, 0, v10
	v_cndmask_b32_e64 v9, v11, v9, s3
	v_mul_f32_e32 v12, 0x37800000, v5
	s_delay_alu instid0(VALU_DEP_4) | instskip(NEXT) | instid1(VALU_DEP_1)
	v_cmp_lt_f32_e64 s3, 0, v13
	v_cndmask_b32_e64 v7, v9, v7, s3
	s_delay_alu instid0(VALU_DEP_3) | instskip(SKIP_1) | instid1(VALU_DEP_2)
	v_cndmask_b32_e32 v5, v5, v12, vcc_lo
	v_cmp_class_f32_e64 vcc_lo, v6, 0x260
	v_cndmask_b32_e32 v5, v5, v6, vcc_lo
	s_delay_alu instid0(VALU_DEP_1) | instskip(SKIP_2) | instid1(VALU_DEP_2)
	v_cmp_nge_f32_e32 vcc_lo, 1.0, v5
	v_dual_cndmask_b32 v1, v8, v1 :: v_dual_mul_f32 v6, 0x37800000, v7
	v_cmp_class_f32_e64 vcc_lo, v4, 0x260
	v_dual_cndmask_b32 v5, v7, v6, s2 :: v_dual_add_f32 v6, 1.0, v1
	s_delay_alu instid0(VALU_DEP_1) | instskip(NEXT) | instid1(VALU_DEP_1)
	v_cndmask_b32_e32 v4, v5, v4, vcc_lo
	v_cmp_nge_f32_e32 vcc_lo, 1.0, v4
	s_delay_alu instid0(VALU_DEP_3)
	v_cndmask_b32_e32 v1, v6, v1, vcc_lo
	s_cbranch_scc1 .LBB27_6
; %bb.7:
	v_lshl_add_u32 v6, v2, 12, v2
	s_movk_i32 s5, 0x2710
	s_brev_b32 s4, 12
	s_delay_alu instid0(VALU_DEP_1) | instskip(NEXT) | instid1(VALU_DEP_1)
	v_add_nc_u32_e32 v2, 0x7ee55e16, v6
	v_lshrrev_b32_e32 v3, 19, v2
	s_delay_alu instid0(VALU_DEP_1) | instskip(NEXT) | instid1(VALU_DEP_1)
	v_xor3_b32 v2, v2, v3, 0xc761c23c
	v_lshl_add_u32 v2, v2, 5, v2
	s_delay_alu instid0(VALU_DEP_1) | instskip(SKIP_1) | instid1(VALU_DEP_1)
	v_add_nc_u32_e32 v3, 0xe9f8cc1d, v2
	v_lshl_add_u32 v2, v2, 9, 0xaccf6200
	v_xor_b32_e32 v2, v3, v2
	s_delay_alu instid0(VALU_DEP_1) | instskip(NEXT) | instid1(VALU_DEP_1)
	v_lshlrev_b32_e32 v3, 3, v2
	v_add3_u32 v2, v2, v3, 0xfd7046c5
	s_delay_alu instid0(VALU_DEP_1) | instskip(NEXT) | instid1(VALU_DEP_1)
	v_lshrrev_b32_e32 v3, 16, v2
	v_xor3_b32 v2, v2, v3, 0xb55a4f09
	s_delay_alu instid0(VALU_DEP_1) | instskip(NEXT) | instid1(VALU_DEP_1)
	v_mul_hi_u32 v3, v2, 3
	v_sub_nc_u32_e32 v4, v2, v3
	s_delay_alu instid0(VALU_DEP_1) | instskip(NEXT) | instid1(VALU_DEP_1)
	v_lshrrev_b32_e32 v4, 1, v4
	v_add_nc_u32_e32 v3, v4, v3
	s_delay_alu instid0(VALU_DEP_1) | instskip(NEXT) | instid1(VALU_DEP_1)
	v_lshrrev_b32_e32 v3, 30, v3
	v_mul_lo_u32 v3, 0x7fffffff, v3
	s_delay_alu instid0(VALU_DEP_1) | instskip(NEXT) | instid1(VALU_DEP_1)
	v_sub_nc_u32_e32 v2, v2, v3
	v_max_u32_e32 v3, 1, v2
	v_mov_b32_e32 v2, 0
.LBB27_8:                               ; =>This Inner Loop Header: Depth=1
	s_delay_alu instid0(VALU_DEP_2) | instskip(NEXT) | instid1(VALU_DEP_1)
	v_mul_hi_u32 v4, 0xbc8f1391, v3
	v_dual_add_f32 v10, 1.0, v2 :: v_dual_lshrrev_b32 v4, 15, v4
	s_delay_alu instid0(VALU_DEP_1) | instskip(NEXT) | instid1(VALU_DEP_1)
	v_mul_u32_u24_e32 v5, 0xadc8, v4
	v_sub_nc_u32_e32 v3, v3, v5
	v_mul_u32_u24_e32 v4, 0xd47, v4
	s_delay_alu instid0(VALU_DEP_2) | instskip(NEXT) | instid1(VALU_DEP_2)
	v_mul_lo_u32 v3, 0xbc8f, v3
	v_xor_b32_e32 v5, 0x7fffffff, v4
	v_sub_nc_u32_e32 v7, 0, v4
	s_delay_alu instid0(VALU_DEP_3) | instskip(NEXT) | instid1(VALU_DEP_2)
	v_cmp_lt_u32_e32 vcc_lo, v3, v4
	v_cndmask_b32_e32 v4, v7, v5, vcc_lo
	s_delay_alu instid0(VALU_DEP_1) | instskip(NEXT) | instid1(VALU_DEP_1)
	v_add_nc_u32_e32 v3, v4, v3
	v_mul_hi_u32 v4, 0xbc8f1391, v3
	s_delay_alu instid0(VALU_DEP_1) | instskip(NEXT) | instid1(VALU_DEP_1)
	v_lshrrev_b32_e32 v4, 15, v4
	v_mul_u32_u24_e32 v5, 0xadc8, v4
	s_delay_alu instid0(VALU_DEP_1) | instskip(SKIP_2) | instid1(VALU_DEP_3)
	v_sub_nc_u32_e32 v5, v3, v5
	v_mul_u32_u24_e32 v4, 0xd47, v4
	v_add_nc_u32_e32 v3, -1, v3
	v_mul_lo_u32 v5, 0xbc8f, v5
	s_delay_alu instid0(VALU_DEP_3) | instskip(SKIP_1) | instid1(VALU_DEP_3)
	v_xor_b32_e32 v7, 0x7fffffff, v4
	v_sub_nc_u32_e32 v8, 0, v4
	v_cmp_lt_u32_e32 vcc_lo, v5, v4
	s_delay_alu instid0(VALU_DEP_2) | instskip(NEXT) | instid1(VALU_DEP_1)
	v_cndmask_b32_e32 v4, v8, v7, vcc_lo
	v_add_nc_u32_e32 v5, v4, v5
	s_delay_alu instid0(VALU_DEP_1) | instskip(NEXT) | instid1(VALU_DEP_1)
	v_mul_hi_u32 v4, 0xbc8f1391, v5
	v_lshrrev_b32_e32 v4, 15, v4
	s_delay_alu instid0(VALU_DEP_1) | instskip(SKIP_1) | instid1(VALU_DEP_2)
	v_mul_u32_u24_e32 v7, 0xadc8, v4
	v_mul_u32_u24_e32 v4, 0xd47, v4
	v_sub_nc_u32_e32 v7, v5, v7
	s_delay_alu instid0(VALU_DEP_2) | instskip(NEXT) | instid1(VALU_DEP_2)
	v_xor_b32_e32 v8, 0x7fffffff, v4
	v_mul_lo_u32 v7, 0xbc8f, v7
	v_sub_nc_u32_e32 v9, 0, v4
	s_delay_alu instid0(VALU_DEP_2) | instskip(NEXT) | instid1(VALU_DEP_2)
	v_cmp_lt_u32_e32 vcc_lo, v7, v4
	v_cndmask_b32_e32 v4, v9, v8, vcc_lo
	s_delay_alu instid0(VALU_DEP_1) | instskip(NEXT) | instid1(VALU_DEP_1)
	v_add_nc_u32_e32 v7, v4, v7
	v_mul_hi_u32 v4, 0xbc8f1391, v7
	s_delay_alu instid0(VALU_DEP_1) | instskip(NEXT) | instid1(VALU_DEP_1)
	v_lshrrev_b32_e32 v4, 15, v4
	v_mul_u32_u24_e32 v9, 0xd47, v4
	s_delay_alu instid0(VALU_DEP_1) | instskip(SKIP_3) | instid1(VALU_DEP_3)
	v_sub_nc_u32_e32 v11, 0, v9
	v_mul_u32_u24_e32 v8, 0xadc8, v4
	v_cvt_f32_u32_e32 v4, v3
	v_xor_b32_e32 v3, 0x7fffffff, v9
	v_dual_sub_nc_u32 v8, v7, v8 :: v_dual_add_nc_u32 v7, -1, v7
	s_delay_alu instid0(VALU_DEP_1) | instskip(NEXT) | instid1(VALU_DEP_1)
	v_mul_lo_u32 v8, 0xbc8f, v8
	v_cmp_lt_u32_e32 vcc_lo, v8, v9
	s_delay_alu instid0(VALU_DEP_4) | instskip(NEXT) | instid1(VALU_DEP_1)
	v_dual_add_nc_u32 v5, -1, v5 :: v_dual_cndmask_b32 v3, v11, v3, vcc_lo
	v_cvt_f32_u32_e32 v5, v5
	s_delay_alu instid0(VALU_DEP_2) | instskip(NEXT) | instid1(VALU_DEP_2)
	v_add_nc_u32_e32 v3, v3, v8
	v_pk_fma_f32 v[4:5], v[4:5], s[4:5], 0 op_sel_hi:[1,0,0]
	v_cvt_f32_u32_e32 v8, v7
	s_delay_alu instid0(VALU_DEP_2) | instskip(NEXT) | instid1(VALU_DEP_1)
	v_pk_mul_f32 v[4:5], v[4:5], v[4:5]
	v_dual_add_nc_u32 v9, -1, v3 :: v_dual_add_f32 v7, v4, v5
	s_delay_alu instid0(VALU_DEP_1) | instskip(NEXT) | instid1(VALU_DEP_2)
	v_cvt_f32_u32_e32 v9, v9
	v_cmp_gt_f32_e32 vcc_lo, 0xf800000, v7
	s_delay_alu instid0(VALU_DEP_2) | instskip(SKIP_2) | instid1(SALU_CYCLE_1)
	v_pk_fma_f32 v[4:5], v[8:9], s[4:5], 0 op_sel_hi:[1,0,0]
	v_mul_f32_e32 v8, 0x4f800000, v7
	s_add_co_i32 s5, s5, -2
	s_cmp_lg_u32 s5, 0
	s_delay_alu instid0(VALU_DEP_2) | instskip(NEXT) | instid1(VALU_DEP_1)
	v_pk_mul_f32 v[4:5], v[4:5], v[4:5]
	v_dual_cndmask_b32 v7, v7, v8 :: v_dual_add_f32 v4, v4, v5
	s_delay_alu instid0(VALU_DEP_1) | instskip(NEXT) | instid1(VALU_DEP_1)
	v_sqrt_f32_e32 v5, v7
	v_mul_f32_e32 v8, 0x4f800000, v4
	v_cmp_gt_f32_e64 s2, 0xf800000, v4
	s_delay_alu instid0(TRANS32_DEP_1) | instid1(VALU_DEP_1)
	v_dual_add_nc_u32 v9, -1, v5 :: v_dual_cndmask_b32 v4, v4, v8, s2
	s_delay_alu instid0(VALU_DEP_1) | instskip(NEXT) | instid1(VALU_DEP_2)
	v_dual_add_nc_u32 v8, 1, v5 :: v_dual_fma_f32 v11, -v9, v5, v7
	v_sqrt_f32_e32 v12, v4
	s_delay_alu instid0(VALU_DEP_1) | instskip(NEXT) | instid1(VALU_DEP_2)
	v_fma_f32 v13, -v8, v5, v7
	v_cmp_ge_f32_e64 s3, 0, v11
	s_delay_alu instid0(TRANS32_DEP_1) | instid1(VALU_DEP_1)
	v_dual_cndmask_b32 v5, v5, v9, s3 :: v_dual_add_nc_u32 v9, -1, v12
	s_delay_alu instid0(VALU_DEP_3) | instskip(NEXT) | instid1(VALU_DEP_2)
	v_cmp_lt_f32_e64 s3, 0, v13
	v_fma_f32 v11, -v9, v12, v4
	s_delay_alu instid0(VALU_DEP_2) | instskip(SKIP_1) | instid1(VALU_DEP_3)
	v_cndmask_b32_e64 v5, v5, v8, s3
	v_add_nc_u32_e32 v8, 1, v12
	v_cmp_ge_f32_e64 s3, 0, v11
	s_delay_alu instid0(VALU_DEP_1) | instskip(NEXT) | instid1(VALU_DEP_4)
	v_cndmask_b32_e64 v9, v12, v9, s3
	v_mul_f32_e32 v13, 0x37800000, v5
	s_delay_alu instid0(VALU_DEP_1) | instskip(SKIP_1) | instid1(VALU_DEP_1)
	v_cndmask_b32_e32 v5, v5, v13, vcc_lo
	v_cmp_class_f32_e64 vcc_lo, v7, 0x260
	v_dual_fma_f32 v14, -v8, v12, v4 :: v_dual_cndmask_b32 v5, v5, v7, vcc_lo
	s_delay_alu instid0(VALU_DEP_1) | instskip(NEXT) | instid1(VALU_DEP_2)
	v_cmp_lt_f32_e64 s3, 0, v14
	v_cmp_nge_f32_e32 vcc_lo, 1.0, v5
	s_delay_alu instid0(VALU_DEP_2) | instskip(SKIP_1) | instid1(VALU_DEP_2)
	v_dual_cndmask_b32 v2, v10, v2, vcc_lo :: v_dual_cndmask_b32 v8, v9, v8, s3
	v_cmp_class_f32_e64 vcc_lo, v4, 0x260
	v_mul_f32_e32 v7, 0x37800000, v8
	s_delay_alu instid0(VALU_DEP_1) | instskip(NEXT) | instid1(VALU_DEP_1)
	v_dual_cndmask_b32 v5, v8, v7, s2 :: v_dual_add_f32 v7, 1.0, v2
	v_cndmask_b32_e32 v4, v5, v4, vcc_lo
	s_delay_alu instid0(VALU_DEP_1) | instskip(NEXT) | instid1(VALU_DEP_3)
	v_cmp_nge_f32_e32 vcc_lo, 1.0, v4
	v_cndmask_b32_e32 v2, v7, v2, vcc_lo
	s_cbranch_scc1 .LBB27_8
; %bb.9:
	v_add_nc_u32_e32 v3, 0x7ef55f16, v6
	s_movk_i32 s5, 0x2710
	s_brev_b32 s4, 12
	s_delay_alu instid0(VALU_DEP_1) | instskip(NEXT) | instid1(VALU_DEP_1)
	v_lshrrev_b32_e32 v4, 19, v3
	v_xor3_b32 v3, v3, v4, 0xc761c23c
	s_delay_alu instid0(VALU_DEP_1) | instskip(NEXT) | instid1(VALU_DEP_1)
	v_lshl_add_u32 v3, v3, 5, v3
	v_add_nc_u32_e32 v4, 0xe9f8cc1d, v3
	v_lshl_add_u32 v3, v3, 9, 0xaccf6200
	s_delay_alu instid0(VALU_DEP_1) | instskip(NEXT) | instid1(VALU_DEP_1)
	v_xor_b32_e32 v3, v4, v3
	v_lshlrev_b32_e32 v4, 3, v3
	s_delay_alu instid0(VALU_DEP_1) | instskip(NEXT) | instid1(VALU_DEP_1)
	v_add3_u32 v3, v3, v4, 0xfd7046c5
	v_lshrrev_b32_e32 v4, 16, v3
	s_delay_alu instid0(VALU_DEP_1) | instskip(NEXT) | instid1(VALU_DEP_1)
	v_xor3_b32 v3, v3, v4, 0xb55a4f09
	v_mul_hi_u32 v4, v3, 3
	s_delay_alu instid0(VALU_DEP_1) | instskip(NEXT) | instid1(VALU_DEP_1)
	v_sub_nc_u32_e32 v5, v3, v4
	v_lshrrev_b32_e32 v5, 1, v5
	s_delay_alu instid0(VALU_DEP_1) | instskip(NEXT) | instid1(VALU_DEP_1)
	v_add_nc_u32_e32 v4, v5, v4
	v_lshrrev_b32_e32 v4, 30, v4
	s_delay_alu instid0(VALU_DEP_1) | instskip(NEXT) | instid1(VALU_DEP_1)
	v_mul_lo_u32 v4, 0x7fffffff, v4
	v_sub_nc_u32_e32 v3, v3, v4
	s_delay_alu instid0(VALU_DEP_1)
	v_max_u32_e32 v4, 1, v3
	v_mov_b32_e32 v3, 0
.LBB27_10:                              ; =>This Inner Loop Header: Depth=1
	s_delay_alu instid0(VALU_DEP_2) | instskip(NEXT) | instid1(VALU_DEP_1)
	v_mul_hi_u32 v5, 0xbc8f1391, v4
	v_lshrrev_b32_e32 v5, 15, v5
	s_delay_alu instid0(VALU_DEP_1) | instskip(NEXT) | instid1(VALU_DEP_1)
	v_mul_u32_u24_e32 v7, 0xadc8, v5
	v_sub_nc_u32_e32 v4, v4, v7
	v_mul_u32_u24_e32 v5, 0xd47, v5
	s_delay_alu instid0(VALU_DEP_2) | instskip(NEXT) | instid1(VALU_DEP_2)
	v_mul_lo_u32 v4, 0xbc8f, v4
	v_xor_b32_e32 v7, 0x7fffffff, v5
	v_sub_nc_u32_e32 v8, 0, v5
	s_delay_alu instid0(VALU_DEP_3) | instskip(NEXT) | instid1(VALU_DEP_2)
	v_cmp_lt_u32_e32 vcc_lo, v4, v5
	v_cndmask_b32_e32 v5, v8, v7, vcc_lo
	s_delay_alu instid0(VALU_DEP_1) | instskip(NEXT) | instid1(VALU_DEP_1)
	v_add_nc_u32_e32 v4, v5, v4
	v_mul_hi_u32 v5, 0xbc8f1391, v4
	s_delay_alu instid0(VALU_DEP_1) | instskip(NEXT) | instid1(VALU_DEP_1)
	v_lshrrev_b32_e32 v5, 15, v5
	v_mul_u32_u24_e32 v7, 0xadc8, v5
	s_delay_alu instid0(VALU_DEP_1) | instskip(SKIP_1) | instid1(VALU_DEP_2)
	v_sub_nc_u32_e32 v7, v4, v7
	v_mul_u32_u24_e32 v5, 0xd47, v5
	v_mul_lo_u32 v7, 0xbc8f, v7
	s_delay_alu instid0(VALU_DEP_2) | instskip(SKIP_1) | instid1(VALU_DEP_3)
	v_xor_b32_e32 v8, 0x7fffffff, v5
	v_sub_nc_u32_e32 v9, 0, v5
	v_cmp_lt_u32_e32 vcc_lo, v7, v5
	s_delay_alu instid0(VALU_DEP_2) | instskip(NEXT) | instid1(VALU_DEP_1)
	v_cndmask_b32_e32 v5, v9, v8, vcc_lo
	v_add_nc_u32_e32 v5, v5, v7
	s_delay_alu instid0(VALU_DEP_1) | instskip(NEXT) | instid1(VALU_DEP_1)
	v_mul_hi_u32 v7, 0xbc8f1391, v5
	v_lshrrev_b32_e32 v7, 15, v7
	s_delay_alu instid0(VALU_DEP_1) | instskip(SKIP_1) | instid1(VALU_DEP_1)
	v_mul_u32_u24_e32 v8, 0xadc8, v7
	v_mul_u32_u24_e32 v7, 0xd47, v7
	v_xor_b32_e32 v9, 0x7fffffff, v7
	s_delay_alu instid0(VALU_DEP_3) | instskip(NEXT) | instid1(VALU_DEP_1)
	v_dual_sub_nc_u32 v10, 0, v7 :: v_dual_sub_nc_u32 v8, v5, v8
	v_mul_lo_u32 v8, 0xbc8f, v8
	s_delay_alu instid0(VALU_DEP_1) | instskip(NEXT) | instid1(VALU_DEP_3)
	v_cmp_lt_u32_e32 vcc_lo, v8, v7
	v_cndmask_b32_e32 v7, v10, v9, vcc_lo
	s_delay_alu instid0(VALU_DEP_1) | instskip(NEXT) | instid1(VALU_DEP_1)
	v_add_nc_u32_e32 v7, v7, v8
	v_mul_hi_u32 v8, 0xbc8f1391, v7
	s_delay_alu instid0(VALU_DEP_1) | instskip(NEXT) | instid1(VALU_DEP_1)
	v_lshrrev_b32_e32 v8, 15, v8
	v_mul_u32_u24_e32 v9, 0xadc8, v8
	s_delay_alu instid0(VALU_DEP_1) | instskip(NEXT) | instid1(VALU_DEP_1)
	v_dual_add_f32 v12, 1.0, v3 :: v_dual_sub_nc_u32 v9, v7, v9
	v_mul_lo_u32 v10, 0xbc8f, v9
	v_mul_u32_u24_e32 v9, 0xd47, v8
	s_delay_alu instid0(VALU_DEP_1) | instskip(NEXT) | instid1(VALU_DEP_1)
	v_dual_add_nc_u32 v4, -1, v4 :: v_dual_sub_nc_u32 v11, 0, v9
	v_cvt_f32_u32_e32 v8, v4
	v_xor_b32_e32 v4, 0x7fffffff, v9
	v_cmp_lt_u32_e32 vcc_lo, v10, v9
	s_delay_alu instid0(VALU_DEP_2) | instskip(NEXT) | instid1(VALU_DEP_1)
	v_dual_cndmask_b32 v4, v11, v4 :: v_dual_add_nc_u32 v5, -1, v5
	v_cvt_f32_u32_e32 v9, v5
	s_delay_alu instid0(VALU_DEP_2) | instskip(NEXT) | instid1(VALU_DEP_2)
	v_dual_add_nc_u32 v5, -1, v7 :: v_dual_add_nc_u32 v4, v4, v10
	v_pk_fma_f32 v[8:9], v[8:9], s[4:5], 0 op_sel_hi:[1,0,0]
	s_delay_alu instid0(VALU_DEP_2) | instskip(NEXT) | instid1(VALU_DEP_2)
	v_cvt_f32_u32_e32 v10, v5
	v_pk_mul_f32 v[8:9], v[8:9], v[8:9]
	s_delay_alu instid0(VALU_DEP_1) | instskip(NEXT) | instid1(VALU_DEP_1)
	v_dual_add_nc_u32 v7, -1, v4 :: v_dual_add_f32 v5, v8, v9
	v_cvt_f32_u32_e32 v11, v7
	s_delay_alu instid0(VALU_DEP_2) | instskip(NEXT) | instid1(VALU_DEP_2)
	v_mul_f32_e32 v7, 0x4f800000, v5
	v_pk_fma_f32 v[8:9], v[10:11], s[4:5], 0 op_sel_hi:[1,0,0]
	v_cmp_gt_f32_e32 vcc_lo, 0xf800000, v5
	s_add_co_i32 s5, s5, -2
	s_delay_alu instid0(SALU_CYCLE_1) | instskip(NEXT) | instid1(VALU_DEP_2)
	s_cmp_lg_u32 s5, 0
	v_pk_mul_f32 v[8:9], v[8:9], v[8:9]
	s_delay_alu instid0(VALU_DEP_1) | instskip(NEXT) | instid1(VALU_DEP_1)
	v_dual_cndmask_b32 v5, v5, v7, vcc_lo :: v_dual_add_f32 v7, v8, v9
	v_sqrt_f32_e32 v8, v5
	s_delay_alu instid0(VALU_DEP_1)
	v_mul_f32_e32 v9, 0x4f800000, v7
	v_cmp_gt_f32_e64 s2, 0xf800000, v7
	s_delay_alu instid0(TRANS32_DEP_1) | instid1(VALU_DEP_1)
	v_dual_add_nc_u32 v10, -1, v8 :: v_dual_cndmask_b32 v7, v7, v9, s2
	s_delay_alu instid0(VALU_DEP_1) | instskip(NEXT) | instid1(VALU_DEP_2)
	v_dual_add_nc_u32 v9, 1, v8 :: v_dual_fma_f32 v11, -v10, v8, v5
	v_sqrt_f32_e32 v13, v7
	s_delay_alu instid0(VALU_DEP_1) | instskip(NEXT) | instid1(VALU_DEP_2)
	v_fma_f32 v14, -v9, v8, v5
	v_cmp_ge_f32_e64 s3, 0, v11
	s_delay_alu instid0(VALU_DEP_1) | instskip(NEXT) | instid1(VALU_DEP_3)
	v_cndmask_b32_e64 v8, v8, v10, s3
	v_cmp_lt_f32_e64 s3, 0, v14
	s_delay_alu instid0(TRANS32_DEP_1) | instskip(NEXT) | instid1(VALU_DEP_2)
	v_add_nc_u32_e32 v10, -1, v13
	v_cndmask_b32_e64 v8, v8, v9, s3
	s_delay_alu instid0(VALU_DEP_2) | instskip(NEXT) | instid1(VALU_DEP_1)
	v_dual_add_nc_u32 v9, 1, v13 :: v_dual_fma_f32 v11, -v10, v13, v7
	v_fma_f32 v15, -v9, v13, v7
	s_delay_alu instid0(VALU_DEP_2) | instskip(NEXT) | instid1(VALU_DEP_1)
	v_cmp_ge_f32_e64 s3, 0, v11
	v_cndmask_b32_e64 v10, v13, v10, s3
	v_mul_f32_e32 v14, 0x37800000, v8
	s_delay_alu instid0(VALU_DEP_4) | instskip(NEXT) | instid1(VALU_DEP_1)
	v_cmp_lt_f32_e64 s3, 0, v15
	v_dual_cndmask_b32 v8, v8, v14, vcc_lo :: v_dual_cndmask_b32 v9, v10, v9, s3
	v_cmp_class_f32_e64 vcc_lo, v5, 0x260
	s_delay_alu instid0(VALU_DEP_2) | instskip(NEXT) | instid1(VALU_DEP_1)
	v_cndmask_b32_e32 v5, v8, v5, vcc_lo
	v_cmp_nge_f32_e32 vcc_lo, 1.0, v5
	s_delay_alu instid0(VALU_DEP_4) | instskip(NEXT) | instid1(VALU_DEP_1)
	v_dual_mul_f32 v8, 0x37800000, v9 :: v_dual_cndmask_b32 v3, v12, v3
	v_cndmask_b32_e64 v5, v9, v8, s2
	v_cmp_class_f32_e64 vcc_lo, v7, 0x260
	s_delay_alu instid0(VALU_DEP_3) | instskip(NEXT) | instid1(VALU_DEP_3)
	v_add_f32_e32 v8, 1.0, v3
	v_cndmask_b32_e32 v5, v5, v7, vcc_lo
	s_delay_alu instid0(VALU_DEP_1) | instskip(NEXT) | instid1(VALU_DEP_3)
	v_cmp_nge_f32_e32 vcc_lo, 1.0, v5
	v_cndmask_b32_e32 v3, v8, v3, vcc_lo
	s_cbranch_scc1 .LBB27_10
; %bb.11:
	v_add_nc_u32_e32 v4, 0x7f056016, v6
	s_movk_i32 s5, 0x2710
	s_brev_b32 s4, 12
	s_delay_alu instid0(VALU_DEP_1) | instskip(NEXT) | instid1(VALU_DEP_1)
	v_lshrrev_b32_e32 v5, 19, v4
	v_xor3_b32 v4, v4, v5, 0xc761c23c
	s_delay_alu instid0(VALU_DEP_1) | instskip(NEXT) | instid1(VALU_DEP_1)
	v_lshl_add_u32 v4, v4, 5, v4
	v_add_nc_u32_e32 v5, 0xe9f8cc1d, v4
	v_lshl_add_u32 v4, v4, 9, 0xaccf6200
	s_delay_alu instid0(VALU_DEP_1) | instskip(NEXT) | instid1(VALU_DEP_1)
	v_xor_b32_e32 v4, v5, v4
	v_lshlrev_b32_e32 v5, 3, v4
	s_delay_alu instid0(VALU_DEP_1) | instskip(NEXT) | instid1(VALU_DEP_1)
	v_add3_u32 v4, v4, v5, 0xfd7046c5
	v_lshrrev_b32_e32 v5, 16, v4
	s_delay_alu instid0(VALU_DEP_1) | instskip(NEXT) | instid1(VALU_DEP_1)
	v_xor3_b32 v4, v4, v5, 0xb55a4f09
	v_mul_hi_u32 v5, v4, 3
	s_delay_alu instid0(VALU_DEP_1) | instskip(NEXT) | instid1(VALU_DEP_1)
	v_sub_nc_u32_e32 v7, v4, v5
	v_lshrrev_b32_e32 v7, 1, v7
	s_delay_alu instid0(VALU_DEP_1) | instskip(NEXT) | instid1(VALU_DEP_1)
	v_add_nc_u32_e32 v5, v7, v5
	v_lshrrev_b32_e32 v5, 30, v5
	s_delay_alu instid0(VALU_DEP_1) | instskip(NEXT) | instid1(VALU_DEP_1)
	v_mul_lo_u32 v5, 0x7fffffff, v5
	v_sub_nc_u32_e32 v4, v4, v5
	s_delay_alu instid0(VALU_DEP_1)
	v_max_u32_e32 v5, 1, v4
	v_mov_b32_e32 v4, 0
.LBB27_12:                              ; =>This Inner Loop Header: Depth=1
	s_delay_alu instid0(VALU_DEP_2) | instskip(NEXT) | instid1(VALU_DEP_1)
	v_mul_hi_u32 v7, 0xbc8f1391, v5
	v_dual_add_f32 v12, 1.0, v4 :: v_dual_lshrrev_b32 v7, 15, v7
	s_delay_alu instid0(VALU_DEP_1) | instskip(NEXT) | instid1(VALU_DEP_1)
	v_mul_u32_u24_e32 v8, 0xadc8, v7
	v_sub_nc_u32_e32 v5, v5, v8
	v_mul_u32_u24_e32 v7, 0xd47, v7
	s_delay_alu instid0(VALU_DEP_2) | instskip(NEXT) | instid1(VALU_DEP_2)
	v_mul_lo_u32 v5, 0xbc8f, v5
	v_xor_b32_e32 v8, 0x7fffffff, v7
	v_sub_nc_u32_e32 v9, 0, v7
	s_delay_alu instid0(VALU_DEP_3) | instskip(NEXT) | instid1(VALU_DEP_2)
	v_cmp_lt_u32_e32 vcc_lo, v5, v7
	v_cndmask_b32_e32 v7, v9, v8, vcc_lo
	s_delay_alu instid0(VALU_DEP_1) | instskip(NEXT) | instid1(VALU_DEP_1)
	v_add_nc_u32_e32 v5, v7, v5
	v_mul_hi_u32 v7, 0xbc8f1391, v5
	s_delay_alu instid0(VALU_DEP_1) | instskip(NEXT) | instid1(VALU_DEP_1)
	v_lshrrev_b32_e32 v7, 15, v7
	v_mul_u32_u24_e32 v8, 0xadc8, v7
	s_delay_alu instid0(VALU_DEP_1) | instskip(SKIP_1) | instid1(VALU_DEP_2)
	v_sub_nc_u32_e32 v8, v5, v8
	v_mul_u32_u24_e32 v7, 0xd47, v7
	v_mul_lo_u32 v8, 0xbc8f, v8
	s_delay_alu instid0(VALU_DEP_2) | instskip(SKIP_1) | instid1(VALU_DEP_3)
	v_xor_b32_e32 v9, 0x7fffffff, v7
	v_sub_nc_u32_e32 v10, 0, v7
	v_cmp_lt_u32_e32 vcc_lo, v8, v7
	s_delay_alu instid0(VALU_DEP_2) | instskip(NEXT) | instid1(VALU_DEP_1)
	v_cndmask_b32_e32 v7, v10, v9, vcc_lo
	v_add_nc_u32_e32 v7, v7, v8
	s_delay_alu instid0(VALU_DEP_1) | instskip(NEXT) | instid1(VALU_DEP_1)
	v_mul_hi_u32 v8, 0xbc8f1391, v7
	v_lshrrev_b32_e32 v8, 15, v8
	s_delay_alu instid0(VALU_DEP_1) | instskip(SKIP_1) | instid1(VALU_DEP_2)
	v_mul_u32_u24_e32 v9, 0xadc8, v8
	v_mul_u32_u24_e32 v8, 0xd47, v8
	v_sub_nc_u32_e32 v9, v7, v9
	s_delay_alu instid0(VALU_DEP_2) | instskip(SKIP_1) | instid1(VALU_DEP_3)
	v_xor_b32_e32 v10, 0x7fffffff, v8
	v_dual_sub_nc_u32 v11, 0, v8 :: v_dual_add_nc_u32 v7, -1, v7
	v_mul_lo_u32 v9, 0xbc8f, v9
	s_delay_alu instid0(VALU_DEP_1) | instskip(NEXT) | instid1(VALU_DEP_3)
	v_cmp_lt_u32_e32 vcc_lo, v9, v8
	v_cndmask_b32_e32 v8, v11, v10, vcc_lo
	s_delay_alu instid0(VALU_DEP_1) | instskip(NEXT) | instid1(VALU_DEP_1)
	v_add_nc_u32_e32 v10, v8, v9
	v_mul_hi_u32 v8, 0xbc8f1391, v10
	s_delay_alu instid0(VALU_DEP_1) | instskip(NEXT) | instid1(VALU_DEP_1)
	v_lshrrev_b32_e32 v8, 15, v8
	v_mul_u32_u24_e32 v9, 0xadc8, v8
	s_delay_alu instid0(VALU_DEP_1) | instskip(NEXT) | instid1(VALU_DEP_1)
	v_sub_nc_u32_e32 v9, v10, v9
	v_mul_lo_u32 v11, 0xbc8f, v9
	v_mul_u32_u24_e32 v9, 0xd47, v8
	s_delay_alu instid0(VALU_DEP_1) | instskip(SKIP_1) | instid1(VALU_DEP_4)
	v_sub_nc_u32_e32 v13, 0, v9
	v_add_nc_u32_e32 v5, -1, v5
	v_cmp_lt_u32_e32 vcc_lo, v11, v9
	s_delay_alu instid0(VALU_DEP_2) | instskip(SKIP_3) | instid1(VALU_DEP_2)
	v_cvt_f32_u32_e32 v8, v5
	v_xor_b32_e32 v5, 0x7fffffff, v9
	v_cvt_f32_u32_e32 v9, v7
	v_add_nc_u32_e32 v7, -1, v10
	v_pk_fma_f32 v[8:9], v[8:9], s[4:5], 0 op_sel_hi:[1,0,0]
	s_delay_alu instid0(VALU_DEP_2) | instskip(NEXT) | instid1(VALU_DEP_2)
	v_cvt_f32_u32_e32 v10, v7
	v_pk_mul_f32 v[8:9], v[8:9], v[8:9]
	s_delay_alu instid0(VALU_DEP_1) | instskip(SKIP_1) | instid1(VALU_DEP_2)
	v_add_f32_e32 v7, v8, v9
	v_cndmask_b32_e32 v5, v13, v5, vcc_lo
	v_cmp_gt_f32_e32 vcc_lo, 0xf800000, v7
	s_delay_alu instid0(VALU_DEP_2) | instskip(NEXT) | instid1(VALU_DEP_1)
	v_add_nc_u32_e32 v5, v5, v11
	v_add_nc_u32_e32 v11, -1, v5
	s_delay_alu instid0(VALU_DEP_1) | instskip(NEXT) | instid1(VALU_DEP_1)
	v_cvt_f32_u32_e32 v11, v11
	v_pk_fma_f32 v[8:9], v[10:11], s[4:5], 0 op_sel_hi:[1,0,0]
	s_add_co_i32 s5, s5, -2
	s_delay_alu instid0(SALU_CYCLE_1) | instskip(NEXT) | instid1(VALU_DEP_1)
	s_cmp_lg_u32 s5, 0
	v_pk_mul_f32 v[8:9], v[8:9], v[8:9]
	s_delay_alu instid0(VALU_DEP_1) | instskip(SKIP_1) | instid1(VALU_DEP_2)
	v_add_f32_e32 v8, v8, v9
	v_mul_f32_e32 v10, 0x4f800000, v7
	v_cmp_gt_f32_e64 s2, 0xf800000, v8
	s_delay_alu instid0(VALU_DEP_2) | instskip(NEXT) | instid1(VALU_DEP_1)
	v_dual_cndmask_b32 v7, v7, v10 :: v_dual_mul_f32 v10, 0x4f800000, v8
	v_sqrt_f32_e32 v9, v7
	s_delay_alu instid0(VALU_DEP_1) | instskip(NEXT) | instid1(VALU_DEP_1)
	v_cndmask_b32_e64 v8, v8, v10, s2
	v_sqrt_f32_e32 v14, v8
	s_delay_alu instid0(TRANS32_DEP_2) | instskip(NEXT) | instid1(VALU_DEP_1)
	v_dual_add_nc_u32 v11, -1, v9 :: v_dual_add_nc_u32 v10, 1, v9
	v_fma_f32 v13, -v11, v9, v7
	s_delay_alu instid0(VALU_DEP_1) | instskip(NEXT) | instid1(VALU_DEP_1)
	v_cmp_ge_f32_e64 s3, 0, v13
	v_dual_fma_f32 v15, -v10, v9, v7 :: v_dual_cndmask_b32 v9, v9, v11, s3
	s_delay_alu instid0(VALU_DEP_1) | instskip(NEXT) | instid1(TRANS32_DEP_1)
	v_cmp_lt_f32_e64 s3, 0, v15
	v_add_nc_u32_e32 v11, -1, v14
	s_delay_alu instid0(VALU_DEP_2) | instskip(NEXT) | instid1(VALU_DEP_2)
	v_cndmask_b32_e64 v9, v9, v10, s3
	v_dual_add_nc_u32 v10, 1, v14 :: v_dual_fma_f32 v13, -v11, v14, v8
	s_delay_alu instid0(VALU_DEP_1) | instskip(NEXT) | instid1(VALU_DEP_2)
	v_fma_f32 v16, -v10, v14, v8
	v_cmp_ge_f32_e64 s3, 0, v13
	s_delay_alu instid0(VALU_DEP_1) | instskip(SKIP_1) | instid1(VALU_DEP_4)
	v_cndmask_b32_e64 v11, v14, v11, s3
	v_mul_f32_e32 v15, 0x37800000, v9
	v_cmp_lt_f32_e64 s3, 0, v16
	s_delay_alu instid0(VALU_DEP_1) | instskip(SKIP_1) | instid1(VALU_DEP_2)
	v_dual_cndmask_b32 v9, v9, v15, vcc_lo :: v_dual_cndmask_b32 v10, v11, v10, s3
	v_cmp_class_f32_e64 vcc_lo, v7, 0x260
	v_cndmask_b32_e32 v7, v9, v7, vcc_lo
	s_delay_alu instid0(VALU_DEP_3) | instskip(NEXT) | instid1(VALU_DEP_2)
	v_mul_f32_e32 v9, 0x37800000, v10
	v_cmp_nge_f32_e32 vcc_lo, 1.0, v7
	s_delay_alu instid0(VALU_DEP_2) | instskip(SKIP_1) | instid1(VALU_DEP_2)
	v_dual_cndmask_b32 v4, v12, v4, vcc_lo :: v_dual_cndmask_b32 v7, v10, v9, s2
	v_cmp_class_f32_e64 vcc_lo, v8, 0x260
	v_add_f32_e32 v9, 1.0, v4
	s_delay_alu instid0(VALU_DEP_3) | instskip(NEXT) | instid1(VALU_DEP_1)
	v_cndmask_b32_e32 v7, v7, v8, vcc_lo
	v_cmp_nge_f32_e32 vcc_lo, 1.0, v7
	s_delay_alu instid0(VALU_DEP_3)
	v_cndmask_b32_e32 v4, v9, v4, vcc_lo
	s_cbranch_scc1 .LBB27_12
; %bb.13:
	v_add_nc_u32_e32 v5, 0x7f156116, v6
	s_movk_i32 s5, 0x2710
	s_brev_b32 s4, 12
	s_delay_alu instid0(VALU_DEP_1) | instskip(NEXT) | instid1(VALU_DEP_1)
	v_lshrrev_b32_e32 v7, 19, v5
	v_xor3_b32 v5, v5, v7, 0xc761c23c
	s_delay_alu instid0(VALU_DEP_1) | instskip(NEXT) | instid1(VALU_DEP_1)
	v_lshl_add_u32 v5, v5, 5, v5
	v_add_nc_u32_e32 v7, 0xe9f8cc1d, v5
	v_lshl_add_u32 v5, v5, 9, 0xaccf6200
	s_delay_alu instid0(VALU_DEP_1) | instskip(NEXT) | instid1(VALU_DEP_1)
	v_xor_b32_e32 v5, v7, v5
	v_lshlrev_b32_e32 v7, 3, v5
	s_delay_alu instid0(VALU_DEP_1) | instskip(NEXT) | instid1(VALU_DEP_1)
	v_add3_u32 v5, v5, v7, 0xfd7046c5
	v_lshrrev_b32_e32 v7, 16, v5
	s_delay_alu instid0(VALU_DEP_1) | instskip(NEXT) | instid1(VALU_DEP_1)
	v_xor3_b32 v5, v5, v7, 0xb55a4f09
	v_mul_hi_u32 v7, v5, 3
	s_delay_alu instid0(VALU_DEP_1) | instskip(NEXT) | instid1(VALU_DEP_1)
	v_sub_nc_u32_e32 v8, v5, v7
	v_lshrrev_b32_e32 v8, 1, v8
	s_delay_alu instid0(VALU_DEP_1) | instskip(NEXT) | instid1(VALU_DEP_1)
	v_add_nc_u32_e32 v7, v8, v7
	v_lshrrev_b32_e32 v7, 30, v7
	s_delay_alu instid0(VALU_DEP_1) | instskip(NEXT) | instid1(VALU_DEP_1)
	v_mul_lo_u32 v7, 0x7fffffff, v7
	v_sub_nc_u32_e32 v5, v5, v7
	s_delay_alu instid0(VALU_DEP_1)
	v_max_u32_e32 v7, 1, v5
	v_mov_b32_e32 v5, 0
.LBB27_14:                              ; =>This Inner Loop Header: Depth=1
	s_delay_alu instid0(VALU_DEP_2) | instskip(NEXT) | instid1(VALU_DEP_1)
	v_mul_hi_u32 v8, 0xbc8f1391, v7
	v_lshrrev_b32_e32 v8, 15, v8
	s_delay_alu instid0(VALU_DEP_1) | instskip(NEXT) | instid1(VALU_DEP_1)
	v_mul_u32_u24_e32 v9, 0xadc8, v8
	v_sub_nc_u32_e32 v7, v7, v9
	v_mul_u32_u24_e32 v8, 0xd47, v8
	s_delay_alu instid0(VALU_DEP_2) | instskip(NEXT) | instid1(VALU_DEP_2)
	v_mul_lo_u32 v7, 0xbc8f, v7
	v_xor_b32_e32 v9, 0x7fffffff, v8
	v_sub_nc_u32_e32 v10, 0, v8
	s_delay_alu instid0(VALU_DEP_3) | instskip(NEXT) | instid1(VALU_DEP_2)
	v_cmp_lt_u32_e32 vcc_lo, v7, v8
	v_cndmask_b32_e32 v8, v10, v9, vcc_lo
	s_delay_alu instid0(VALU_DEP_1) | instskip(NEXT) | instid1(VALU_DEP_1)
	v_add_nc_u32_e32 v7, v8, v7
	v_mul_hi_u32 v8, 0xbc8f1391, v7
	s_delay_alu instid0(VALU_DEP_1) | instskip(NEXT) | instid1(VALU_DEP_1)
	v_lshrrev_b32_e32 v8, 15, v8
	v_mul_u32_u24_e32 v9, 0xadc8, v8
	v_mul_u32_u24_e32 v8, 0xd47, v8
	s_delay_alu instid0(VALU_DEP_2) | instskip(NEXT) | instid1(VALU_DEP_2)
	v_sub_nc_u32_e32 v9, v7, v9
	v_xor_b32_e32 v10, 0x7fffffff, v8
	v_add_nc_u32_e32 v7, -1, v7
	s_delay_alu instid0(VALU_DEP_3) | instskip(SKIP_1) | instid1(VALU_DEP_2)
	v_mul_lo_u32 v9, 0xbc8f, v9
	v_sub_nc_u32_e32 v11, 0, v8
	v_cmp_lt_u32_e32 vcc_lo, v9, v8
	s_delay_alu instid0(VALU_DEP_2) | instskip(NEXT) | instid1(VALU_DEP_1)
	v_cndmask_b32_e32 v8, v11, v10, vcc_lo
	v_add_nc_u32_e32 v9, v8, v9
	s_delay_alu instid0(VALU_DEP_1) | instskip(NEXT) | instid1(VALU_DEP_1)
	v_mul_hi_u32 v8, 0xbc8f1391, v9
	v_lshrrev_b32_e32 v8, 15, v8
	s_delay_alu instid0(VALU_DEP_1) | instskip(SKIP_1) | instid1(VALU_DEP_2)
	v_mul_u32_u24_e32 v10, 0xadc8, v8
	v_mul_u32_u24_e32 v8, 0xd47, v8
	v_sub_nc_u32_e32 v10, v9, v10
	s_delay_alu instid0(VALU_DEP_2) | instskip(NEXT) | instid1(VALU_DEP_2)
	v_xor_b32_e32 v11, 0x7fffffff, v8
	v_mul_lo_u32 v10, 0xbc8f, v10
	v_sub_nc_u32_e32 v12, 0, v8
	s_delay_alu instid0(VALU_DEP_2) | instskip(NEXT) | instid1(VALU_DEP_2)
	v_cmp_lt_u32_e32 vcc_lo, v10, v8
	v_dual_cndmask_b32 v8, v12, v11, vcc_lo :: v_dual_add_f32 v12, 1.0, v5
	s_delay_alu instid0(VALU_DEP_1) | instskip(NEXT) | instid1(VALU_DEP_1)
	v_add_nc_u32_e32 v10, v8, v10
	v_mul_hi_u32 v8, 0xbc8f1391, v10
	s_delay_alu instid0(VALU_DEP_1) | instskip(NEXT) | instid1(VALU_DEP_1)
	v_lshrrev_b32_e32 v8, 15, v8
	v_mul_u32_u24_e32 v11, 0xadc8, v8
	v_mul_u32_u24_e32 v13, 0xd47, v8
	v_cvt_f32_u32_e32 v8, v7
	s_delay_alu instid0(VALU_DEP_3) | instskip(NEXT) | instid1(VALU_DEP_3)
	v_sub_nc_u32_e32 v11, v10, v11
	v_xor_b32_e32 v7, 0x7fffffff, v13
	v_dual_sub_nc_u32 v14, 0, v13 :: v_dual_add_nc_u32 v10, -1, v10
	s_delay_alu instid0(VALU_DEP_3) | instskip(NEXT) | instid1(VALU_DEP_2)
	v_mul_lo_u32 v11, 0xbc8f, v11
	v_cvt_f32_u32_e32 v10, v10
	s_delay_alu instid0(VALU_DEP_2) | instskip(NEXT) | instid1(VALU_DEP_4)
	v_cmp_lt_u32_e32 vcc_lo, v11, v13
	v_dual_add_nc_u32 v9, -1, v9 :: v_dual_cndmask_b32 v7, v14, v7, vcc_lo
	s_delay_alu instid0(VALU_DEP_1) | instskip(NEXT) | instid1(VALU_DEP_2)
	v_cvt_f32_u32_e32 v9, v9
	v_add_nc_u32_e32 v7, v7, v11
	s_delay_alu instid0(VALU_DEP_2) | instskip(NEXT) | instid1(VALU_DEP_1)
	v_pk_fma_f32 v[8:9], v[8:9], s[4:5], 0 op_sel_hi:[1,0,0]
	v_pk_mul_f32 v[8:9], v[8:9], v[8:9]
	s_delay_alu instid0(VALU_DEP_1) | instskip(NEXT) | instid1(VALU_DEP_1)
	v_dual_add_nc_u32 v11, -1, v7 :: v_dual_add_f32 v13, v8, v9
	v_cvt_f32_u32_e32 v11, v11
	s_delay_alu instid0(VALU_DEP_2) | instskip(NEXT) | instid1(VALU_DEP_2)
	v_cmp_gt_f32_e32 vcc_lo, 0xf800000, v13
	v_pk_fma_f32 v[8:9], v[10:11], s[4:5], 0 op_sel_hi:[1,0,0]
	s_add_co_i32 s5, s5, -2
	s_delay_alu instid0(SALU_CYCLE_1) | instskip(NEXT) | instid1(VALU_DEP_1)
	s_cmp_lg_u32 s5, 0
	v_pk_mul_f32 v[8:9], v[8:9], v[8:9]
	s_delay_alu instid0(VALU_DEP_1) | instskip(NEXT) | instid1(VALU_DEP_1)
	v_add_f32_e32 v8, v8, v9
	v_dual_mul_f32 v10, 0x4f800000, v13 :: v_dual_mul_f32 v11, 0x4f800000, v8
	s_delay_alu instid0(VALU_DEP_1) | instskip(SKIP_1) | instid1(VALU_DEP_2)
	v_cndmask_b32_e32 v10, v13, v10, vcc_lo
	v_cmp_gt_f32_e64 s2, 0xf800000, v8
	v_sqrt_f32_e32 v9, v10
	v_nop
	s_delay_alu instid0(TRANS32_DEP_1) | instskip(NEXT) | instid1(VALU_DEP_1)
	v_dual_add_nc_u32 v13, -1, v9 :: v_dual_cndmask_b32 v8, v8, v11, s2
	v_dual_add_nc_u32 v11, 1, v9 :: v_dual_fma_f32 v14, -v13, v9, v10
	s_delay_alu instid0(VALU_DEP_2) | instskip(NEXT) | instid1(VALU_DEP_1)
	v_sqrt_f32_e32 v15, v8
	v_fma_f32 v16, -v11, v9, v10
	s_delay_alu instid0(VALU_DEP_2)
	v_cmp_ge_f32_e64 s3, 0, v14
	s_delay_alu instid0(TRANS32_DEP_1) | instid1(VALU_DEP_1)
	v_dual_cndmask_b32 v9, v9, v13, s3 :: v_dual_add_nc_u32 v13, -1, v15
	s_delay_alu instid0(VALU_DEP_3) | instskip(NEXT) | instid1(VALU_DEP_1)
	v_cmp_lt_f32_e64 s3, 0, v16
	v_cndmask_b32_e64 v9, v9, v11, s3
	s_delay_alu instid0(VALU_DEP_3) | instskip(NEXT) | instid1(VALU_DEP_1)
	v_dual_add_nc_u32 v11, 1, v15 :: v_dual_fma_f32 v14, -v13, v15, v8
	v_fma_f32 v17, -v11, v15, v8
	s_delay_alu instid0(VALU_DEP_2) | instskip(NEXT) | instid1(VALU_DEP_1)
	v_cmp_ge_f32_e64 s3, 0, v14
	v_cndmask_b32_e64 v13, v15, v13, s3
	v_mul_f32_e32 v16, 0x37800000, v9
	s_delay_alu instid0(VALU_DEP_4) | instskip(NEXT) | instid1(VALU_DEP_1)
	v_cmp_lt_f32_e64 s3, 0, v17
	v_cndmask_b32_e64 v11, v13, v11, s3
	s_delay_alu instid0(VALU_DEP_3) | instskip(SKIP_1) | instid1(VALU_DEP_2)
	v_cndmask_b32_e32 v9, v9, v16, vcc_lo
	v_cmp_class_f32_e64 vcc_lo, v10, 0x260
	v_cndmask_b32_e32 v9, v9, v10, vcc_lo
	s_delay_alu instid0(VALU_DEP_1) | instskip(SKIP_2) | instid1(VALU_DEP_2)
	v_cmp_nge_f32_e32 vcc_lo, 1.0, v9
	v_dual_cndmask_b32 v5, v12, v5 :: v_dual_mul_f32 v10, 0x37800000, v11
	v_cmp_class_f32_e64 vcc_lo, v8, 0x260
	v_dual_cndmask_b32 v9, v11, v10, s2 :: v_dual_add_f32 v10, 1.0, v5
	s_delay_alu instid0(VALU_DEP_1) | instskip(NEXT) | instid1(VALU_DEP_1)
	v_cndmask_b32_e32 v8, v9, v8, vcc_lo
	v_cmp_nge_f32_e32 vcc_lo, 1.0, v8
	s_delay_alu instid0(VALU_DEP_3)
	v_cndmask_b32_e32 v5, v10, v5, vcc_lo
	s_cbranch_scc1 .LBB27_14
; %bb.15:
	v_add_nc_u32_e32 v7, 0x7f256216, v6
	s_movk_i32 s5, 0x2710
	s_brev_b32 s4, 12
	s_delay_alu instid0(VALU_DEP_1) | instskip(NEXT) | instid1(VALU_DEP_1)
	v_lshrrev_b32_e32 v8, 19, v7
	v_xor3_b32 v7, v7, v8, 0xc761c23c
	s_delay_alu instid0(VALU_DEP_1) | instskip(NEXT) | instid1(VALU_DEP_1)
	v_lshl_add_u32 v7, v7, 5, v7
	v_add_nc_u32_e32 v8, 0xe9f8cc1d, v7
	v_lshl_add_u32 v7, v7, 9, 0xaccf6200
	s_delay_alu instid0(VALU_DEP_1) | instskip(NEXT) | instid1(VALU_DEP_1)
	v_xor_b32_e32 v7, v8, v7
	v_lshlrev_b32_e32 v8, 3, v7
	s_delay_alu instid0(VALU_DEP_1) | instskip(NEXT) | instid1(VALU_DEP_1)
	v_add3_u32 v7, v7, v8, 0xfd7046c5
	v_lshrrev_b32_e32 v8, 16, v7
	s_delay_alu instid0(VALU_DEP_1) | instskip(NEXT) | instid1(VALU_DEP_1)
	v_xor3_b32 v7, v7, v8, 0xb55a4f09
	v_mul_hi_u32 v8, v7, 3
	s_delay_alu instid0(VALU_DEP_1) | instskip(NEXT) | instid1(VALU_DEP_1)
	v_sub_nc_u32_e32 v9, v7, v8
	v_lshrrev_b32_e32 v9, 1, v9
	s_delay_alu instid0(VALU_DEP_1) | instskip(NEXT) | instid1(VALU_DEP_1)
	v_add_nc_u32_e32 v8, v9, v8
	v_lshrrev_b32_e32 v8, 30, v8
	s_delay_alu instid0(VALU_DEP_1) | instskip(NEXT) | instid1(VALU_DEP_1)
	v_mul_lo_u32 v8, 0x7fffffff, v8
	v_sub_nc_u32_e32 v7, v7, v8
	s_delay_alu instid0(VALU_DEP_1)
	v_max_u32_e32 v8, 1, v7
	v_mov_b32_e32 v7, 0
.LBB27_16:                              ; =>This Inner Loop Header: Depth=1
	s_delay_alu instid0(VALU_DEP_2) | instskip(NEXT) | instid1(VALU_DEP_1)
	v_mul_hi_u32 v9, 0xbc8f1391, v8
	v_dual_add_f32 v14, 1.0, v7 :: v_dual_lshrrev_b32 v9, 15, v9
	s_delay_alu instid0(VALU_DEP_1) | instskip(NEXT) | instid1(VALU_DEP_1)
	v_mul_u32_u24_e32 v10, 0xadc8, v9
	v_sub_nc_u32_e32 v8, v8, v10
	v_mul_u32_u24_e32 v9, 0xd47, v9
	s_delay_alu instid0(VALU_DEP_2) | instskip(NEXT) | instid1(VALU_DEP_2)
	v_mul_lo_u32 v8, 0xbc8f, v8
	v_xor_b32_e32 v10, 0x7fffffff, v9
	v_sub_nc_u32_e32 v11, 0, v9
	s_delay_alu instid0(VALU_DEP_3) | instskip(NEXT) | instid1(VALU_DEP_2)
	v_cmp_lt_u32_e32 vcc_lo, v8, v9
	v_cndmask_b32_e32 v9, v11, v10, vcc_lo
	s_delay_alu instid0(VALU_DEP_1) | instskip(NEXT) | instid1(VALU_DEP_1)
	v_add_nc_u32_e32 v8, v9, v8
	v_mul_hi_u32 v9, 0xbc8f1391, v8
	s_delay_alu instid0(VALU_DEP_1) | instskip(NEXT) | instid1(VALU_DEP_1)
	v_lshrrev_b32_e32 v9, 15, v9
	v_mul_u32_u24_e32 v10, 0xadc8, v9
	v_mul_u32_u24_e32 v9, 0xd47, v9
	s_delay_alu instid0(VALU_DEP_2) | instskip(NEXT) | instid1(VALU_DEP_2)
	v_sub_nc_u32_e32 v10, v8, v10
	v_xor_b32_e32 v11, 0x7fffffff, v9
	v_add_nc_u32_e32 v8, -1, v8
	s_delay_alu instid0(VALU_DEP_3) | instskip(SKIP_1) | instid1(VALU_DEP_2)
	v_mul_lo_u32 v10, 0xbc8f, v10
	v_sub_nc_u32_e32 v12, 0, v9
	v_cmp_lt_u32_e32 vcc_lo, v10, v9
	s_delay_alu instid0(VALU_DEP_2) | instskip(NEXT) | instid1(VALU_DEP_1)
	v_cndmask_b32_e32 v9, v12, v11, vcc_lo
	v_add_nc_u32_e32 v9, v9, v10
	s_delay_alu instid0(VALU_DEP_1) | instskip(NEXT) | instid1(VALU_DEP_1)
	v_mul_hi_u32 v10, 0xbc8f1391, v9
	v_lshrrev_b32_e32 v10, 15, v10
	s_delay_alu instid0(VALU_DEP_1) | instskip(SKIP_1) | instid1(VALU_DEP_2)
	v_mul_u32_u24_e32 v11, 0xadc8, v10
	v_mul_u32_u24_e32 v10, 0xd47, v10
	v_sub_nc_u32_e32 v11, v9, v11
	s_delay_alu instid0(VALU_DEP_2) | instskip(SKIP_1) | instid1(VALU_DEP_3)
	v_xor_b32_e32 v12, 0x7fffffff, v10
	v_dual_sub_nc_u32 v13, 0, v10 :: v_dual_add_nc_u32 v9, -1, v9
	v_mul_lo_u32 v11, 0xbc8f, v11
	s_delay_alu instid0(VALU_DEP_1) | instskip(NEXT) | instid1(VALU_DEP_3)
	v_cmp_lt_u32_e32 vcc_lo, v11, v10
	v_cndmask_b32_e32 v10, v13, v12, vcc_lo
	s_delay_alu instid0(VALU_DEP_1) | instskip(NEXT) | instid1(VALU_DEP_1)
	v_add_nc_u32_e32 v12, v10, v11
	v_mul_hi_u32 v10, 0xbc8f1391, v12
	s_delay_alu instid0(VALU_DEP_1) | instskip(NEXT) | instid1(VALU_DEP_1)
	v_lshrrev_b32_e32 v10, 15, v10
	v_mul_u32_u24_e32 v11, 0xadc8, v10
	s_delay_alu instid0(VALU_DEP_1) | instskip(NEXT) | instid1(VALU_DEP_1)
	v_sub_nc_u32_e32 v11, v12, v11
	v_mul_lo_u32 v13, 0xbc8f, v11
	v_mul_u32_u24_e32 v11, 0xd47, v10
	v_cvt_f32_u32_e32 v10, v8
	s_delay_alu instid0(VALU_DEP_2) | instskip(SKIP_4) | instid1(VALU_DEP_2)
	v_xor_b32_e32 v8, 0x7fffffff, v11
	v_sub_nc_u32_e32 v15, 0, v11
	v_cmp_lt_u32_e32 vcc_lo, v13, v11
	v_cvt_f32_u32_e32 v11, v9
	v_add_nc_u32_e32 v9, -1, v12
	v_pk_fma_f32 v[10:11], v[10:11], s[4:5], 0 op_sel_hi:[1,0,0]
	s_delay_alu instid0(VALU_DEP_2) | instskip(NEXT) | instid1(VALU_DEP_2)
	v_cvt_f32_u32_e32 v12, v9
	v_pk_mul_f32 v[10:11], v[10:11], v[10:11]
	s_delay_alu instid0(VALU_DEP_1) | instskip(NEXT) | instid1(VALU_DEP_1)
	v_dual_cndmask_b32 v8, v15, v8 :: v_dual_add_f32 v9, v10, v11
	v_add_nc_u32_e32 v8, v8, v13
	s_delay_alu instid0(VALU_DEP_2) | instskip(NEXT) | instid1(VALU_DEP_2)
	v_cmp_gt_f32_e32 vcc_lo, 0xf800000, v9
	v_add_nc_u32_e32 v13, -1, v8
	s_delay_alu instid0(VALU_DEP_1) | instskip(NEXT) | instid1(VALU_DEP_1)
	v_cvt_f32_u32_e32 v13, v13
	v_pk_fma_f32 v[10:11], v[12:13], s[4:5], 0 op_sel_hi:[1,0,0]
	v_mul_f32_e32 v12, 0x4f800000, v9
	s_add_co_i32 s5, s5, -2
	s_delay_alu instid0(SALU_CYCLE_1) | instskip(NEXT) | instid1(VALU_DEP_2)
	s_cmp_lg_u32 s5, 0
	v_pk_mul_f32 v[10:11], v[10:11], v[10:11]
	s_delay_alu instid0(VALU_DEP_1) | instskip(NEXT) | instid1(VALU_DEP_1)
	v_dual_add_f32 v10, v10, v11 :: v_dual_cndmask_b32 v9, v9, v12
	v_mul_f32_e32 v12, 0x4f800000, v10
	s_delay_alu instid0(VALU_DEP_2)
	v_sqrt_f32_e32 v11, v9
	v_cmp_gt_f32_e64 s2, 0xf800000, v10
	s_delay_alu instid0(TRANS32_DEP_1) | instid1(VALU_DEP_1)
	v_dual_cndmask_b32 v10, v10, v12, s2 :: v_dual_add_nc_u32 v13, -1, v11
	v_add_nc_u32_e32 v12, 1, v11
	s_delay_alu instid0(VALU_DEP_2) | instskip(NEXT) | instid1(VALU_DEP_2)
	v_sqrt_f32_e32 v16, v10
	v_fma_f32 v15, -v13, v11, v9
	s_delay_alu instid0(VALU_DEP_1) | instskip(NEXT) | instid1(VALU_DEP_1)
	v_cmp_ge_f32_e64 s3, 0, v15
	v_dual_fma_f32 v17, -v12, v11, v9 :: v_dual_cndmask_b32 v11, v11, v13, s3
	s_delay_alu instid0(VALU_DEP_1) | instskip(NEXT) | instid1(TRANS32_DEP_1)
	v_cmp_lt_f32_e64 s3, 0, v17
	v_add_nc_u32_e32 v13, -1, v16
	s_delay_alu instid0(VALU_DEP_2) | instskip(NEXT) | instid1(VALU_DEP_2)
	v_cndmask_b32_e64 v11, v11, v12, s3
	v_dual_add_nc_u32 v12, 1, v16 :: v_dual_fma_f32 v15, -v13, v16, v10
	s_delay_alu instid0(VALU_DEP_1) | instskip(NEXT) | instid1(VALU_DEP_2)
	v_fma_f32 v18, -v12, v16, v10
	v_cmp_ge_f32_e64 s3, 0, v15
	s_delay_alu instid0(VALU_DEP_1) | instskip(SKIP_1) | instid1(VALU_DEP_4)
	v_cndmask_b32_e64 v13, v16, v13, s3
	v_mul_f32_e32 v17, 0x37800000, v11
	v_cmp_lt_f32_e64 s3, 0, v18
	s_delay_alu instid0(VALU_DEP_1) | instskip(SKIP_1) | instid1(VALU_DEP_2)
	v_dual_cndmask_b32 v11, v11, v17, vcc_lo :: v_dual_cndmask_b32 v12, v13, v12, s3
	v_cmp_class_f32_e64 vcc_lo, v9, 0x260
	v_cndmask_b32_e32 v9, v11, v9, vcc_lo
	s_delay_alu instid0(VALU_DEP_3) | instskip(NEXT) | instid1(VALU_DEP_2)
	v_mul_f32_e32 v11, 0x37800000, v12
	v_cmp_nge_f32_e32 vcc_lo, 1.0, v9
	s_delay_alu instid0(VALU_DEP_2) | instskip(SKIP_2) | instid1(VALU_DEP_1)
	v_cndmask_b32_e64 v9, v12, v11, s2
	v_cndmask_b32_e32 v7, v14, v7, vcc_lo
	v_cmp_class_f32_e64 vcc_lo, v10, 0x260
	v_dual_add_f32 v11, 1.0, v7 :: v_dual_cndmask_b32 v9, v9, v10, vcc_lo
	s_delay_alu instid0(VALU_DEP_1) | instskip(NEXT) | instid1(VALU_DEP_2)
	v_cmp_nge_f32_e32 vcc_lo, 1.0, v9
	v_cndmask_b32_e32 v7, v11, v7, vcc_lo
	s_cbranch_scc1 .LBB27_16
; %bb.17:
	v_add_nc_u32_e32 v8, 0x7f356316, v6
	s_movk_i32 s5, 0x2710
	s_brev_b32 s4, 12
	s_delay_alu instid0(VALU_DEP_1) | instskip(NEXT) | instid1(VALU_DEP_1)
	v_lshrrev_b32_e32 v9, 19, v8
	v_xor3_b32 v8, v8, v9, 0xc761c23c
	s_delay_alu instid0(VALU_DEP_1) | instskip(NEXT) | instid1(VALU_DEP_1)
	v_lshl_add_u32 v8, v8, 5, v8
	v_add_nc_u32_e32 v9, 0xe9f8cc1d, v8
	v_lshl_add_u32 v8, v8, 9, 0xaccf6200
	s_delay_alu instid0(VALU_DEP_1) | instskip(NEXT) | instid1(VALU_DEP_1)
	v_xor_b32_e32 v8, v9, v8
	v_lshlrev_b32_e32 v9, 3, v8
	s_delay_alu instid0(VALU_DEP_1) | instskip(NEXT) | instid1(VALU_DEP_1)
	v_add3_u32 v8, v8, v9, 0xfd7046c5
	v_lshrrev_b32_e32 v9, 16, v8
	s_delay_alu instid0(VALU_DEP_1) | instskip(NEXT) | instid1(VALU_DEP_1)
	v_xor3_b32 v8, v8, v9, 0xb55a4f09
	v_mul_hi_u32 v9, v8, 3
	s_delay_alu instid0(VALU_DEP_1) | instskip(NEXT) | instid1(VALU_DEP_1)
	v_sub_nc_u32_e32 v10, v8, v9
	v_lshrrev_b32_e32 v10, 1, v10
	s_delay_alu instid0(VALU_DEP_1) | instskip(NEXT) | instid1(VALU_DEP_1)
	v_add_nc_u32_e32 v9, v10, v9
	v_lshrrev_b32_e32 v9, 30, v9
	s_delay_alu instid0(VALU_DEP_1) | instskip(NEXT) | instid1(VALU_DEP_1)
	v_mul_lo_u32 v9, 0x7fffffff, v9
	v_sub_nc_u32_e32 v8, v8, v9
	s_delay_alu instid0(VALU_DEP_1)
	v_max_u32_e32 v9, 1, v8
	v_mov_b32_e32 v8, 0
.LBB27_18:                              ; =>This Inner Loop Header: Depth=1
	s_delay_alu instid0(VALU_DEP_2) | instskip(NEXT) | instid1(VALU_DEP_1)
	v_mul_hi_u32 v10, 0xbc8f1391, v9
	v_lshrrev_b32_e32 v10, 15, v10
	s_delay_alu instid0(VALU_DEP_1) | instskip(NEXT) | instid1(VALU_DEP_1)
	v_mul_u32_u24_e32 v11, 0xadc8, v10
	v_sub_nc_u32_e32 v9, v9, v11
	v_mul_u32_u24_e32 v10, 0xd47, v10
	s_delay_alu instid0(VALU_DEP_2) | instskip(NEXT) | instid1(VALU_DEP_2)
	v_mul_lo_u32 v9, 0xbc8f, v9
	v_xor_b32_e32 v11, 0x7fffffff, v10
	v_sub_nc_u32_e32 v12, 0, v10
	s_delay_alu instid0(VALU_DEP_3) | instskip(NEXT) | instid1(VALU_DEP_2)
	v_cmp_lt_u32_e32 vcc_lo, v9, v10
	v_cndmask_b32_e32 v10, v12, v11, vcc_lo
	s_delay_alu instid0(VALU_DEP_1) | instskip(NEXT) | instid1(VALU_DEP_1)
	v_add_nc_u32_e32 v9, v10, v9
	v_mul_hi_u32 v10, 0xbc8f1391, v9
	s_delay_alu instid0(VALU_DEP_1) | instskip(NEXT) | instid1(VALU_DEP_1)
	v_lshrrev_b32_e32 v10, 15, v10
	v_mul_u32_u24_e32 v11, 0xadc8, v10
	v_mul_u32_u24_e32 v10, 0xd47, v10
	s_delay_alu instid0(VALU_DEP_2) | instskip(NEXT) | instid1(VALU_DEP_2)
	v_sub_nc_u32_e32 v11, v9, v11
	v_xor_b32_e32 v12, 0x7fffffff, v10
	v_add_nc_u32_e32 v9, -1, v9
	s_delay_alu instid0(VALU_DEP_3) | instskip(SKIP_1) | instid1(VALU_DEP_2)
	v_mul_lo_u32 v11, 0xbc8f, v11
	v_sub_nc_u32_e32 v13, 0, v10
	v_cmp_lt_u32_e32 vcc_lo, v11, v10
	s_delay_alu instid0(VALU_DEP_2) | instskip(NEXT) | instid1(VALU_DEP_1)
	v_cndmask_b32_e32 v10, v13, v12, vcc_lo
	v_add_nc_u32_e32 v11, v10, v11
	s_delay_alu instid0(VALU_DEP_1) | instskip(NEXT) | instid1(VALU_DEP_1)
	v_mul_hi_u32 v10, 0xbc8f1391, v11
	v_lshrrev_b32_e32 v10, 15, v10
	s_delay_alu instid0(VALU_DEP_1) | instskip(SKIP_1) | instid1(VALU_DEP_2)
	v_mul_u32_u24_e32 v12, 0xadc8, v10
	v_mul_u32_u24_e32 v10, 0xd47, v10
	v_sub_nc_u32_e32 v12, v11, v12
	s_delay_alu instid0(VALU_DEP_2) | instskip(NEXT) | instid1(VALU_DEP_2)
	v_xor_b32_e32 v13, 0x7fffffff, v10
	v_mul_lo_u32 v12, 0xbc8f, v12
	v_sub_nc_u32_e32 v14, 0, v10
	s_delay_alu instid0(VALU_DEP_2) | instskip(NEXT) | instid1(VALU_DEP_2)
	v_cmp_lt_u32_e32 vcc_lo, v12, v10
	v_dual_cndmask_b32 v10, v14, v13, vcc_lo :: v_dual_add_f32 v14, 1.0, v8
	s_delay_alu instid0(VALU_DEP_1) | instskip(NEXT) | instid1(VALU_DEP_1)
	v_add_nc_u32_e32 v12, v10, v12
	v_mul_hi_u32 v10, 0xbc8f1391, v12
	s_delay_alu instid0(VALU_DEP_1) | instskip(NEXT) | instid1(VALU_DEP_1)
	v_lshrrev_b32_e32 v10, 15, v10
	v_mul_u32_u24_e32 v13, 0xadc8, v10
	v_mul_u32_u24_e32 v15, 0xd47, v10
	v_cvt_f32_u32_e32 v10, v9
	s_delay_alu instid0(VALU_DEP_3) | instskip(NEXT) | instid1(VALU_DEP_3)
	v_sub_nc_u32_e32 v13, v12, v13
	v_xor_b32_e32 v9, 0x7fffffff, v15
	v_dual_sub_nc_u32 v16, 0, v15 :: v_dual_add_nc_u32 v12, -1, v12
	s_delay_alu instid0(VALU_DEP_3) | instskip(NEXT) | instid1(VALU_DEP_2)
	v_mul_lo_u32 v13, 0xbc8f, v13
	v_cvt_f32_u32_e32 v12, v12
	s_delay_alu instid0(VALU_DEP_2) | instskip(NEXT) | instid1(VALU_DEP_4)
	v_cmp_lt_u32_e32 vcc_lo, v13, v15
	v_dual_add_nc_u32 v11, -1, v11 :: v_dual_cndmask_b32 v9, v16, v9, vcc_lo
	s_delay_alu instid0(VALU_DEP_1) | instskip(NEXT) | instid1(VALU_DEP_2)
	v_cvt_f32_u32_e32 v11, v11
	v_add_nc_u32_e32 v9, v9, v13
	s_delay_alu instid0(VALU_DEP_2) | instskip(NEXT) | instid1(VALU_DEP_1)
	v_pk_fma_f32 v[10:11], v[10:11], s[4:5], 0 op_sel_hi:[1,0,0]
	v_pk_mul_f32 v[10:11], v[10:11], v[10:11]
	s_delay_alu instid0(VALU_DEP_1) | instskip(NEXT) | instid1(VALU_DEP_1)
	v_dual_add_nc_u32 v13, -1, v9 :: v_dual_add_f32 v15, v10, v11
	v_cvt_f32_u32_e32 v13, v13
	s_delay_alu instid0(VALU_DEP_2) | instskip(NEXT) | instid1(VALU_DEP_2)
	v_cmp_gt_f32_e32 vcc_lo, 0xf800000, v15
	v_pk_fma_f32 v[10:11], v[12:13], s[4:5], 0 op_sel_hi:[1,0,0]
	s_add_co_i32 s5, s5, -2
	s_delay_alu instid0(SALU_CYCLE_1) | instskip(NEXT) | instid1(VALU_DEP_1)
	s_cmp_lg_u32 s5, 0
	v_pk_mul_f32 v[10:11], v[10:11], v[10:11]
	s_delay_alu instid0(VALU_DEP_1) | instskip(NEXT) | instid1(VALU_DEP_1)
	v_add_f32_e32 v10, v10, v11
	v_dual_mul_f32 v12, 0x4f800000, v15 :: v_dual_mul_f32 v13, 0x4f800000, v10
	s_delay_alu instid0(VALU_DEP_1) | instskip(SKIP_1) | instid1(VALU_DEP_2)
	v_cndmask_b32_e32 v12, v15, v12, vcc_lo
	v_cmp_gt_f32_e64 s2, 0xf800000, v10
	v_sqrt_f32_e32 v11, v12
	v_nop
	s_delay_alu instid0(TRANS32_DEP_1) | instskip(NEXT) | instid1(VALU_DEP_1)
	v_dual_add_nc_u32 v15, -1, v11 :: v_dual_cndmask_b32 v10, v10, v13, s2
	v_dual_add_nc_u32 v13, 1, v11 :: v_dual_fma_f32 v16, -v15, v11, v12
	s_delay_alu instid0(VALU_DEP_2) | instskip(NEXT) | instid1(VALU_DEP_1)
	v_sqrt_f32_e32 v17, v10
	v_fma_f32 v18, -v13, v11, v12
	s_delay_alu instid0(VALU_DEP_2)
	v_cmp_ge_f32_e64 s3, 0, v16
	s_delay_alu instid0(TRANS32_DEP_1) | instid1(VALU_DEP_1)
	v_dual_cndmask_b32 v11, v11, v15, s3 :: v_dual_add_nc_u32 v15, -1, v17
	s_delay_alu instid0(VALU_DEP_3) | instskip(NEXT) | instid1(VALU_DEP_1)
	v_cmp_lt_f32_e64 s3, 0, v18
	v_cndmask_b32_e64 v11, v11, v13, s3
	s_delay_alu instid0(VALU_DEP_3) | instskip(NEXT) | instid1(VALU_DEP_1)
	v_dual_add_nc_u32 v13, 1, v17 :: v_dual_fma_f32 v16, -v15, v17, v10
	v_fma_f32 v19, -v13, v17, v10
	s_delay_alu instid0(VALU_DEP_2) | instskip(NEXT) | instid1(VALU_DEP_1)
	v_cmp_ge_f32_e64 s3, 0, v16
	v_cndmask_b32_e64 v15, v17, v15, s3
	v_mul_f32_e32 v18, 0x37800000, v11
	s_delay_alu instid0(VALU_DEP_4) | instskip(NEXT) | instid1(VALU_DEP_1)
	v_cmp_lt_f32_e64 s3, 0, v19
	v_cndmask_b32_e64 v13, v15, v13, s3
	s_delay_alu instid0(VALU_DEP_3) | instskip(SKIP_1) | instid1(VALU_DEP_2)
	v_cndmask_b32_e32 v11, v11, v18, vcc_lo
	v_cmp_class_f32_e64 vcc_lo, v12, 0x260
	v_cndmask_b32_e32 v11, v11, v12, vcc_lo
	s_delay_alu instid0(VALU_DEP_1) | instskip(SKIP_3) | instid1(VALU_DEP_2)
	v_cmp_nge_f32_e32 vcc_lo, 1.0, v11
	v_cndmask_b32_e32 v8, v14, v8, vcc_lo
	v_mul_f32_e32 v12, 0x37800000, v13
	v_cmp_class_f32_e64 vcc_lo, v10, 0x260
	v_cndmask_b32_e64 v11, v13, v12, s2
	s_delay_alu instid0(VALU_DEP_1) | instskip(NEXT) | instid1(VALU_DEP_1)
	v_dual_add_f32 v12, 1.0, v8 :: v_dual_cndmask_b32 v10, v11, v10, vcc_lo
	v_cmp_nge_f32_e32 vcc_lo, 1.0, v10
	s_delay_alu instid0(VALU_DEP_2)
	v_cndmask_b32_e32 v8, v12, v8, vcc_lo
	s_cbranch_scc1 .LBB27_18
; %bb.19:
	v_add_nc_u32_e32 v9, 0x7f456416, v6
	s_movk_i32 s5, 0x2710
	s_brev_b32 s4, 12
	s_delay_alu instid0(VALU_DEP_1) | instskip(NEXT) | instid1(VALU_DEP_1)
	v_lshrrev_b32_e32 v10, 19, v9
	v_xor3_b32 v9, v9, v10, 0xc761c23c
	s_delay_alu instid0(VALU_DEP_1) | instskip(NEXT) | instid1(VALU_DEP_1)
	v_lshl_add_u32 v9, v9, 5, v9
	v_add_nc_u32_e32 v10, 0xe9f8cc1d, v9
	v_lshl_add_u32 v9, v9, 9, 0xaccf6200
	s_delay_alu instid0(VALU_DEP_1) | instskip(NEXT) | instid1(VALU_DEP_1)
	v_xor_b32_e32 v9, v10, v9
	v_lshlrev_b32_e32 v10, 3, v9
	s_delay_alu instid0(VALU_DEP_1) | instskip(NEXT) | instid1(VALU_DEP_1)
	v_add3_u32 v9, v9, v10, 0xfd7046c5
	v_lshrrev_b32_e32 v10, 16, v9
	s_delay_alu instid0(VALU_DEP_1) | instskip(NEXT) | instid1(VALU_DEP_1)
	v_xor3_b32 v9, v9, v10, 0xb55a4f09
	v_mul_hi_u32 v10, v9, 3
	s_delay_alu instid0(VALU_DEP_1) | instskip(NEXT) | instid1(VALU_DEP_1)
	v_sub_nc_u32_e32 v11, v9, v10
	v_lshrrev_b32_e32 v11, 1, v11
	s_delay_alu instid0(VALU_DEP_1) | instskip(NEXT) | instid1(VALU_DEP_1)
	v_add_nc_u32_e32 v10, v11, v10
	v_lshrrev_b32_e32 v10, 30, v10
	s_delay_alu instid0(VALU_DEP_1) | instskip(NEXT) | instid1(VALU_DEP_1)
	v_mul_lo_u32 v10, 0x7fffffff, v10
	v_sub_nc_u32_e32 v9, v9, v10
	s_delay_alu instid0(VALU_DEP_1)
	v_max_u32_e32 v10, 1, v9
	v_mov_b32_e32 v9, 0
.LBB27_20:                              ; =>This Inner Loop Header: Depth=1
	s_delay_alu instid0(VALU_DEP_2) | instskip(NEXT) | instid1(VALU_DEP_1)
	v_mul_hi_u32 v11, 0xbc8f1391, v10
	v_dual_add_f32 v16, 1.0, v9 :: v_dual_lshrrev_b32 v11, 15, v11
	s_delay_alu instid0(VALU_DEP_1) | instskip(NEXT) | instid1(VALU_DEP_1)
	v_mul_u32_u24_e32 v12, 0xadc8, v11
	v_sub_nc_u32_e32 v10, v10, v12
	v_mul_u32_u24_e32 v11, 0xd47, v11
	s_delay_alu instid0(VALU_DEP_2) | instskip(NEXT) | instid1(VALU_DEP_2)
	v_mul_lo_u32 v10, 0xbc8f, v10
	v_xor_b32_e32 v12, 0x7fffffff, v11
	v_sub_nc_u32_e32 v13, 0, v11
	s_delay_alu instid0(VALU_DEP_3) | instskip(NEXT) | instid1(VALU_DEP_2)
	v_cmp_lt_u32_e32 vcc_lo, v10, v11
	v_cndmask_b32_e32 v11, v13, v12, vcc_lo
	s_delay_alu instid0(VALU_DEP_1) | instskip(NEXT) | instid1(VALU_DEP_1)
	v_add_nc_u32_e32 v10, v11, v10
	v_mul_hi_u32 v11, 0xbc8f1391, v10
	s_delay_alu instid0(VALU_DEP_1) | instskip(NEXT) | instid1(VALU_DEP_1)
	v_lshrrev_b32_e32 v11, 15, v11
	v_mul_u32_u24_e32 v12, 0xadc8, v11
	v_mul_u32_u24_e32 v11, 0xd47, v11
	s_delay_alu instid0(VALU_DEP_2) | instskip(NEXT) | instid1(VALU_DEP_2)
	v_sub_nc_u32_e32 v12, v10, v12
	v_xor_b32_e32 v13, 0x7fffffff, v11
	v_add_nc_u32_e32 v10, -1, v10
	s_delay_alu instid0(VALU_DEP_3) | instskip(SKIP_1) | instid1(VALU_DEP_2)
	v_mul_lo_u32 v12, 0xbc8f, v12
	v_sub_nc_u32_e32 v14, 0, v11
	v_cmp_lt_u32_e32 vcc_lo, v12, v11
	s_delay_alu instid0(VALU_DEP_2) | instskip(NEXT) | instid1(VALU_DEP_1)
	v_cndmask_b32_e32 v11, v14, v13, vcc_lo
	v_add_nc_u32_e32 v11, v11, v12
	s_delay_alu instid0(VALU_DEP_1) | instskip(NEXT) | instid1(VALU_DEP_1)
	v_mul_hi_u32 v12, 0xbc8f1391, v11
	v_lshrrev_b32_e32 v12, 15, v12
	s_delay_alu instid0(VALU_DEP_1) | instskip(SKIP_1) | instid1(VALU_DEP_2)
	v_mul_u32_u24_e32 v13, 0xadc8, v12
	v_mul_u32_u24_e32 v12, 0xd47, v12
	v_sub_nc_u32_e32 v13, v11, v13
	s_delay_alu instid0(VALU_DEP_2) | instskip(SKIP_1) | instid1(VALU_DEP_3)
	v_xor_b32_e32 v14, 0x7fffffff, v12
	v_dual_sub_nc_u32 v15, 0, v12 :: v_dual_add_nc_u32 v11, -1, v11
	v_mul_lo_u32 v13, 0xbc8f, v13
	s_delay_alu instid0(VALU_DEP_1) | instskip(NEXT) | instid1(VALU_DEP_3)
	v_cmp_lt_u32_e32 vcc_lo, v13, v12
	v_cndmask_b32_e32 v12, v15, v14, vcc_lo
	s_delay_alu instid0(VALU_DEP_1) | instskip(NEXT) | instid1(VALU_DEP_1)
	v_add_nc_u32_e32 v14, v12, v13
	v_mul_hi_u32 v12, 0xbc8f1391, v14
	s_delay_alu instid0(VALU_DEP_1) | instskip(NEXT) | instid1(VALU_DEP_1)
	v_lshrrev_b32_e32 v12, 15, v12
	v_mul_u32_u24_e32 v13, 0xadc8, v12
	s_delay_alu instid0(VALU_DEP_1) | instskip(NEXT) | instid1(VALU_DEP_1)
	v_sub_nc_u32_e32 v13, v14, v13
	v_mul_lo_u32 v15, 0xbc8f, v13
	v_mul_u32_u24_e32 v13, 0xd47, v12
	v_cvt_f32_u32_e32 v12, v10
	s_delay_alu instid0(VALU_DEP_2) | instskip(SKIP_4) | instid1(VALU_DEP_2)
	v_xor_b32_e32 v10, 0x7fffffff, v13
	v_sub_nc_u32_e32 v17, 0, v13
	v_cmp_lt_u32_e32 vcc_lo, v15, v13
	v_cvt_f32_u32_e32 v13, v11
	v_add_nc_u32_e32 v11, -1, v14
	v_pk_fma_f32 v[12:13], v[12:13], s[4:5], 0 op_sel_hi:[1,0,0]
	s_delay_alu instid0(VALU_DEP_2) | instskip(NEXT) | instid1(VALU_DEP_2)
	v_cvt_f32_u32_e32 v14, v11
	v_pk_mul_f32 v[12:13], v[12:13], v[12:13]
	s_delay_alu instid0(VALU_DEP_1) | instskip(NEXT) | instid1(VALU_DEP_1)
	v_dual_cndmask_b32 v10, v17, v10 :: v_dual_add_f32 v11, v12, v13
	v_add_nc_u32_e32 v10, v10, v15
	s_delay_alu instid0(VALU_DEP_2) | instskip(NEXT) | instid1(VALU_DEP_2)
	v_cmp_gt_f32_e32 vcc_lo, 0xf800000, v11
	v_add_nc_u32_e32 v15, -1, v10
	s_delay_alu instid0(VALU_DEP_1) | instskip(NEXT) | instid1(VALU_DEP_1)
	v_cvt_f32_u32_e32 v15, v15
	v_pk_fma_f32 v[12:13], v[14:15], s[4:5], 0 op_sel_hi:[1,0,0]
	v_mul_f32_e32 v14, 0x4f800000, v11
	s_add_co_i32 s5, s5, -2
	s_delay_alu instid0(SALU_CYCLE_1) | instskip(NEXT) | instid1(VALU_DEP_2)
	s_cmp_lg_u32 s5, 0
	v_pk_mul_f32 v[12:13], v[12:13], v[12:13]
	s_delay_alu instid0(VALU_DEP_1) | instskip(NEXT) | instid1(VALU_DEP_1)
	v_dual_add_f32 v12, v12, v13 :: v_dual_cndmask_b32 v11, v11, v14
	v_mul_f32_e32 v14, 0x4f800000, v12
	s_delay_alu instid0(VALU_DEP_2)
	v_sqrt_f32_e32 v13, v11
	v_cmp_gt_f32_e64 s2, 0xf800000, v12
	s_delay_alu instid0(TRANS32_DEP_1) | instid1(VALU_DEP_1)
	v_dual_cndmask_b32 v12, v12, v14, s2 :: v_dual_add_nc_u32 v15, -1, v13
	v_add_nc_u32_e32 v14, 1, v13
	s_delay_alu instid0(VALU_DEP_2) | instskip(NEXT) | instid1(VALU_DEP_2)
	v_sqrt_f32_e32 v18, v12
	v_fma_f32 v17, -v15, v13, v11
	s_delay_alu instid0(VALU_DEP_1) | instskip(NEXT) | instid1(VALU_DEP_1)
	v_cmp_ge_f32_e64 s3, 0, v17
	v_dual_fma_f32 v19, -v14, v13, v11 :: v_dual_cndmask_b32 v13, v13, v15, s3
	s_delay_alu instid0(VALU_DEP_1) | instskip(NEXT) | instid1(TRANS32_DEP_1)
	v_cmp_lt_f32_e64 s3, 0, v19
	v_add_nc_u32_e32 v15, -1, v18
	s_delay_alu instid0(VALU_DEP_2) | instskip(NEXT) | instid1(VALU_DEP_2)
	v_cndmask_b32_e64 v13, v13, v14, s3
	v_dual_add_nc_u32 v14, 1, v18 :: v_dual_fma_f32 v17, -v15, v18, v12
	s_delay_alu instid0(VALU_DEP_1) | instskip(NEXT) | instid1(VALU_DEP_2)
	v_fma_f32 v20, -v14, v18, v12
	v_cmp_ge_f32_e64 s3, 0, v17
	s_delay_alu instid0(VALU_DEP_1) | instskip(SKIP_1) | instid1(VALU_DEP_4)
	v_cndmask_b32_e64 v15, v18, v15, s3
	v_mul_f32_e32 v19, 0x37800000, v13
	v_cmp_lt_f32_e64 s3, 0, v20
	s_delay_alu instid0(VALU_DEP_1) | instskip(SKIP_1) | instid1(VALU_DEP_2)
	v_dual_cndmask_b32 v13, v13, v19, vcc_lo :: v_dual_cndmask_b32 v14, v15, v14, s3
	v_cmp_class_f32_e64 vcc_lo, v11, 0x260
	v_cndmask_b32_e32 v11, v13, v11, vcc_lo
	s_delay_alu instid0(VALU_DEP_3) | instskip(NEXT) | instid1(VALU_DEP_2)
	v_mul_f32_e32 v13, 0x37800000, v14
	v_cmp_nge_f32_e32 vcc_lo, 1.0, v11
	s_delay_alu instid0(VALU_DEP_2) | instskip(SKIP_2) | instid1(VALU_DEP_1)
	v_cndmask_b32_e64 v11, v14, v13, s2
	v_cndmask_b32_e32 v9, v16, v9, vcc_lo
	v_cmp_class_f32_e64 vcc_lo, v12, 0x260
	v_dual_add_f32 v13, 1.0, v9 :: v_dual_cndmask_b32 v11, v11, v12, vcc_lo
	s_delay_alu instid0(VALU_DEP_1) | instskip(NEXT) | instid1(VALU_DEP_2)
	v_cmp_nge_f32_e32 vcc_lo, 1.0, v11
	v_cndmask_b32_e32 v9, v13, v9, vcc_lo
	s_cbranch_scc1 .LBB27_20
; %bb.21:
	v_add_nc_u32_e32 v10, 0x7f556516, v6
	s_movk_i32 s5, 0x2710
	s_brev_b32 s4, 12
	s_delay_alu instid0(VALU_DEP_1) | instskip(NEXT) | instid1(VALU_DEP_1)
	v_lshrrev_b32_e32 v11, 19, v10
	v_xor3_b32 v10, v10, v11, 0xc761c23c
	s_delay_alu instid0(VALU_DEP_1) | instskip(NEXT) | instid1(VALU_DEP_1)
	v_lshl_add_u32 v10, v10, 5, v10
	v_add_nc_u32_e32 v11, 0xe9f8cc1d, v10
	v_lshl_add_u32 v10, v10, 9, 0xaccf6200
	s_delay_alu instid0(VALU_DEP_1) | instskip(NEXT) | instid1(VALU_DEP_1)
	v_xor_b32_e32 v10, v11, v10
	v_lshlrev_b32_e32 v11, 3, v10
	s_delay_alu instid0(VALU_DEP_1) | instskip(NEXT) | instid1(VALU_DEP_1)
	v_add3_u32 v10, v10, v11, 0xfd7046c5
	v_lshrrev_b32_e32 v11, 16, v10
	s_delay_alu instid0(VALU_DEP_1) | instskip(NEXT) | instid1(VALU_DEP_1)
	v_xor3_b32 v10, v10, v11, 0xb55a4f09
	v_mul_hi_u32 v11, v10, 3
	s_delay_alu instid0(VALU_DEP_1) | instskip(NEXT) | instid1(VALU_DEP_1)
	v_sub_nc_u32_e32 v12, v10, v11
	v_lshrrev_b32_e32 v12, 1, v12
	s_delay_alu instid0(VALU_DEP_1) | instskip(NEXT) | instid1(VALU_DEP_1)
	v_add_nc_u32_e32 v11, v12, v11
	v_lshrrev_b32_e32 v11, 30, v11
	s_delay_alu instid0(VALU_DEP_1) | instskip(NEXT) | instid1(VALU_DEP_1)
	v_mul_lo_u32 v11, 0x7fffffff, v11
	v_sub_nc_u32_e32 v10, v10, v11
	s_delay_alu instid0(VALU_DEP_1)
	v_max_u32_e32 v11, 1, v10
	v_mov_b32_e32 v10, 0
.LBB27_22:                              ; =>This Inner Loop Header: Depth=1
	s_delay_alu instid0(VALU_DEP_2) | instskip(NEXT) | instid1(VALU_DEP_1)
	v_mul_hi_u32 v12, 0xbc8f1391, v11
	v_lshrrev_b32_e32 v12, 15, v12
	s_delay_alu instid0(VALU_DEP_1) | instskip(NEXT) | instid1(VALU_DEP_1)
	v_mul_u32_u24_e32 v13, 0xadc8, v12
	v_sub_nc_u32_e32 v11, v11, v13
	v_mul_u32_u24_e32 v12, 0xd47, v12
	s_delay_alu instid0(VALU_DEP_2) | instskip(NEXT) | instid1(VALU_DEP_2)
	v_mul_lo_u32 v11, 0xbc8f, v11
	v_xor_b32_e32 v13, 0x7fffffff, v12
	v_sub_nc_u32_e32 v14, 0, v12
	s_delay_alu instid0(VALU_DEP_3) | instskip(NEXT) | instid1(VALU_DEP_2)
	v_cmp_lt_u32_e32 vcc_lo, v11, v12
	v_cndmask_b32_e32 v12, v14, v13, vcc_lo
	s_delay_alu instid0(VALU_DEP_1) | instskip(NEXT) | instid1(VALU_DEP_1)
	v_add_nc_u32_e32 v11, v12, v11
	v_mul_hi_u32 v12, 0xbc8f1391, v11
	s_delay_alu instid0(VALU_DEP_1) | instskip(NEXT) | instid1(VALU_DEP_1)
	v_lshrrev_b32_e32 v12, 15, v12
	v_mul_u32_u24_e32 v13, 0xadc8, v12
	v_mul_u32_u24_e32 v12, 0xd47, v12
	s_delay_alu instid0(VALU_DEP_2) | instskip(NEXT) | instid1(VALU_DEP_2)
	v_sub_nc_u32_e32 v13, v11, v13
	v_xor_b32_e32 v14, 0x7fffffff, v12
	v_add_nc_u32_e32 v11, -1, v11
	s_delay_alu instid0(VALU_DEP_3) | instskip(SKIP_1) | instid1(VALU_DEP_2)
	v_mul_lo_u32 v13, 0xbc8f, v13
	v_sub_nc_u32_e32 v15, 0, v12
	v_cmp_lt_u32_e32 vcc_lo, v13, v12
	s_delay_alu instid0(VALU_DEP_2) | instskip(NEXT) | instid1(VALU_DEP_1)
	v_cndmask_b32_e32 v12, v15, v14, vcc_lo
	v_add_nc_u32_e32 v13, v12, v13
	s_delay_alu instid0(VALU_DEP_1) | instskip(NEXT) | instid1(VALU_DEP_1)
	v_mul_hi_u32 v12, 0xbc8f1391, v13
	v_lshrrev_b32_e32 v12, 15, v12
	s_delay_alu instid0(VALU_DEP_1) | instskip(SKIP_1) | instid1(VALU_DEP_2)
	v_mul_u32_u24_e32 v14, 0xadc8, v12
	v_mul_u32_u24_e32 v12, 0xd47, v12
	v_sub_nc_u32_e32 v14, v13, v14
	s_delay_alu instid0(VALU_DEP_2) | instskip(NEXT) | instid1(VALU_DEP_2)
	v_xor_b32_e32 v15, 0x7fffffff, v12
	v_mul_lo_u32 v14, 0xbc8f, v14
	v_sub_nc_u32_e32 v16, 0, v12
	s_delay_alu instid0(VALU_DEP_2) | instskip(NEXT) | instid1(VALU_DEP_2)
	v_cmp_lt_u32_e32 vcc_lo, v14, v12
	v_dual_cndmask_b32 v12, v16, v15, vcc_lo :: v_dual_add_f32 v16, 1.0, v10
	s_delay_alu instid0(VALU_DEP_1) | instskip(NEXT) | instid1(VALU_DEP_1)
	v_add_nc_u32_e32 v14, v12, v14
	v_mul_hi_u32 v12, 0xbc8f1391, v14
	s_delay_alu instid0(VALU_DEP_1) | instskip(NEXT) | instid1(VALU_DEP_1)
	v_lshrrev_b32_e32 v12, 15, v12
	v_mul_u32_u24_e32 v15, 0xadc8, v12
	v_mul_u32_u24_e32 v17, 0xd47, v12
	v_cvt_f32_u32_e32 v12, v11
	s_delay_alu instid0(VALU_DEP_3) | instskip(NEXT) | instid1(VALU_DEP_3)
	v_sub_nc_u32_e32 v15, v14, v15
	v_xor_b32_e32 v11, 0x7fffffff, v17
	v_dual_sub_nc_u32 v18, 0, v17 :: v_dual_add_nc_u32 v14, -1, v14
	s_delay_alu instid0(VALU_DEP_3) | instskip(NEXT) | instid1(VALU_DEP_2)
	v_mul_lo_u32 v15, 0xbc8f, v15
	v_cvt_f32_u32_e32 v14, v14
	s_delay_alu instid0(VALU_DEP_2) | instskip(NEXT) | instid1(VALU_DEP_4)
	v_cmp_lt_u32_e32 vcc_lo, v15, v17
	v_dual_add_nc_u32 v13, -1, v13 :: v_dual_cndmask_b32 v11, v18, v11, vcc_lo
	s_delay_alu instid0(VALU_DEP_1) | instskip(NEXT) | instid1(VALU_DEP_2)
	v_cvt_f32_u32_e32 v13, v13
	v_add_nc_u32_e32 v11, v11, v15
	s_delay_alu instid0(VALU_DEP_2) | instskip(NEXT) | instid1(VALU_DEP_1)
	v_pk_fma_f32 v[12:13], v[12:13], s[4:5], 0 op_sel_hi:[1,0,0]
	v_pk_mul_f32 v[12:13], v[12:13], v[12:13]
	s_delay_alu instid0(VALU_DEP_1) | instskip(NEXT) | instid1(VALU_DEP_1)
	v_dual_add_nc_u32 v15, -1, v11 :: v_dual_add_f32 v17, v12, v13
	v_cvt_f32_u32_e32 v15, v15
	s_delay_alu instid0(VALU_DEP_2) | instskip(NEXT) | instid1(VALU_DEP_2)
	v_cmp_gt_f32_e32 vcc_lo, 0xf800000, v17
	v_pk_fma_f32 v[12:13], v[14:15], s[4:5], 0 op_sel_hi:[1,0,0]
	s_add_co_i32 s5, s5, -2
	s_delay_alu instid0(SALU_CYCLE_1) | instskip(NEXT) | instid1(VALU_DEP_1)
	s_cmp_lg_u32 s5, 0
	v_pk_mul_f32 v[12:13], v[12:13], v[12:13]
	s_delay_alu instid0(VALU_DEP_1) | instskip(NEXT) | instid1(VALU_DEP_1)
	v_add_f32_e32 v12, v12, v13
	v_dual_mul_f32 v14, 0x4f800000, v17 :: v_dual_mul_f32 v15, 0x4f800000, v12
	s_delay_alu instid0(VALU_DEP_1) | instskip(SKIP_1) | instid1(VALU_DEP_2)
	v_cndmask_b32_e32 v14, v17, v14, vcc_lo
	v_cmp_gt_f32_e64 s2, 0xf800000, v12
	v_sqrt_f32_e32 v13, v14
	v_nop
	s_delay_alu instid0(TRANS32_DEP_1) | instskip(NEXT) | instid1(VALU_DEP_1)
	v_dual_add_nc_u32 v17, -1, v13 :: v_dual_cndmask_b32 v12, v12, v15, s2
	v_dual_add_nc_u32 v15, 1, v13 :: v_dual_fma_f32 v18, -v17, v13, v14
	s_delay_alu instid0(VALU_DEP_2) | instskip(NEXT) | instid1(VALU_DEP_1)
	v_sqrt_f32_e32 v19, v12
	v_fma_f32 v20, -v15, v13, v14
	s_delay_alu instid0(VALU_DEP_2)
	v_cmp_ge_f32_e64 s3, 0, v18
	s_delay_alu instid0(TRANS32_DEP_1) | instid1(VALU_DEP_1)
	v_dual_cndmask_b32 v13, v13, v17, s3 :: v_dual_add_nc_u32 v17, -1, v19
	s_delay_alu instid0(VALU_DEP_3) | instskip(NEXT) | instid1(VALU_DEP_1)
	v_cmp_lt_f32_e64 s3, 0, v20
	v_cndmask_b32_e64 v13, v13, v15, s3
	s_delay_alu instid0(VALU_DEP_3) | instskip(NEXT) | instid1(VALU_DEP_1)
	v_dual_add_nc_u32 v15, 1, v19 :: v_dual_fma_f32 v18, -v17, v19, v12
	v_fma_f32 v21, -v15, v19, v12
	s_delay_alu instid0(VALU_DEP_2) | instskip(NEXT) | instid1(VALU_DEP_1)
	v_cmp_ge_f32_e64 s3, 0, v18
	v_cndmask_b32_e64 v17, v19, v17, s3
	v_mul_f32_e32 v20, 0x37800000, v13
	s_delay_alu instid0(VALU_DEP_4) | instskip(NEXT) | instid1(VALU_DEP_1)
	v_cmp_lt_f32_e64 s3, 0, v21
	v_cndmask_b32_e64 v15, v17, v15, s3
	s_delay_alu instid0(VALU_DEP_3) | instskip(SKIP_1) | instid1(VALU_DEP_2)
	v_cndmask_b32_e32 v13, v13, v20, vcc_lo
	v_cmp_class_f32_e64 vcc_lo, v14, 0x260
	v_cndmask_b32_e32 v13, v13, v14, vcc_lo
	s_delay_alu instid0(VALU_DEP_1) | instskip(SKIP_3) | instid1(VALU_DEP_2)
	v_cmp_nge_f32_e32 vcc_lo, 1.0, v13
	v_cndmask_b32_e32 v10, v16, v10, vcc_lo
	v_mul_f32_e32 v14, 0x37800000, v15
	v_cmp_class_f32_e64 vcc_lo, v12, 0x260
	v_cndmask_b32_e64 v13, v15, v14, s2
	s_delay_alu instid0(VALU_DEP_1) | instskip(NEXT) | instid1(VALU_DEP_1)
	v_dual_add_f32 v14, 1.0, v10 :: v_dual_cndmask_b32 v12, v13, v12, vcc_lo
	v_cmp_nge_f32_e32 vcc_lo, 1.0, v12
	s_delay_alu instid0(VALU_DEP_2)
	v_cndmask_b32_e32 v10, v14, v10, vcc_lo
	s_cbranch_scc1 .LBB27_22
; %bb.23:
	v_add_nc_u32_e32 v11, 0x7f656616, v6
	s_movk_i32 s5, 0x2710
	s_brev_b32 s4, 12
	s_delay_alu instid0(VALU_DEP_1) | instskip(NEXT) | instid1(VALU_DEP_1)
	v_lshrrev_b32_e32 v12, 19, v11
	v_xor3_b32 v11, v11, v12, 0xc761c23c
	s_delay_alu instid0(VALU_DEP_1) | instskip(NEXT) | instid1(VALU_DEP_1)
	v_lshl_add_u32 v11, v11, 5, v11
	v_add_nc_u32_e32 v12, 0xe9f8cc1d, v11
	v_lshl_add_u32 v11, v11, 9, 0xaccf6200
	s_delay_alu instid0(VALU_DEP_1) | instskip(NEXT) | instid1(VALU_DEP_1)
	v_xor_b32_e32 v11, v12, v11
	v_lshlrev_b32_e32 v12, 3, v11
	s_delay_alu instid0(VALU_DEP_1) | instskip(NEXT) | instid1(VALU_DEP_1)
	v_add3_u32 v11, v11, v12, 0xfd7046c5
	v_lshrrev_b32_e32 v12, 16, v11
	s_delay_alu instid0(VALU_DEP_1) | instskip(NEXT) | instid1(VALU_DEP_1)
	v_xor3_b32 v11, v11, v12, 0xb55a4f09
	v_mul_hi_u32 v12, v11, 3
	s_delay_alu instid0(VALU_DEP_1) | instskip(NEXT) | instid1(VALU_DEP_1)
	v_sub_nc_u32_e32 v13, v11, v12
	v_lshrrev_b32_e32 v13, 1, v13
	s_delay_alu instid0(VALU_DEP_1) | instskip(NEXT) | instid1(VALU_DEP_1)
	v_add_nc_u32_e32 v12, v13, v12
	v_lshrrev_b32_e32 v12, 30, v12
	s_delay_alu instid0(VALU_DEP_1) | instskip(NEXT) | instid1(VALU_DEP_1)
	v_mul_lo_u32 v12, 0x7fffffff, v12
	v_sub_nc_u32_e32 v11, v11, v12
	s_delay_alu instid0(VALU_DEP_1)
	v_max_u32_e32 v12, 1, v11
	v_mov_b32_e32 v11, 0
.LBB27_24:                              ; =>This Inner Loop Header: Depth=1
	s_delay_alu instid0(VALU_DEP_2) | instskip(NEXT) | instid1(VALU_DEP_1)
	v_mul_hi_u32 v13, 0xbc8f1391, v12
	v_dual_add_f32 v18, 1.0, v11 :: v_dual_lshrrev_b32 v13, 15, v13
	s_delay_alu instid0(VALU_DEP_1) | instskip(NEXT) | instid1(VALU_DEP_1)
	v_mul_u32_u24_e32 v14, 0xadc8, v13
	v_sub_nc_u32_e32 v12, v12, v14
	v_mul_u32_u24_e32 v13, 0xd47, v13
	s_delay_alu instid0(VALU_DEP_2) | instskip(NEXT) | instid1(VALU_DEP_2)
	v_mul_lo_u32 v12, 0xbc8f, v12
	v_xor_b32_e32 v14, 0x7fffffff, v13
	v_sub_nc_u32_e32 v15, 0, v13
	s_delay_alu instid0(VALU_DEP_3) | instskip(NEXT) | instid1(VALU_DEP_2)
	v_cmp_lt_u32_e32 vcc_lo, v12, v13
	v_cndmask_b32_e32 v13, v15, v14, vcc_lo
	s_delay_alu instid0(VALU_DEP_1) | instskip(NEXT) | instid1(VALU_DEP_1)
	v_add_nc_u32_e32 v12, v13, v12
	v_mul_hi_u32 v13, 0xbc8f1391, v12
	s_delay_alu instid0(VALU_DEP_1) | instskip(NEXT) | instid1(VALU_DEP_1)
	v_lshrrev_b32_e32 v13, 15, v13
	v_mul_u32_u24_e32 v14, 0xadc8, v13
	v_mul_u32_u24_e32 v13, 0xd47, v13
	s_delay_alu instid0(VALU_DEP_2) | instskip(NEXT) | instid1(VALU_DEP_2)
	v_sub_nc_u32_e32 v14, v12, v14
	v_xor_b32_e32 v15, 0x7fffffff, v13
	v_add_nc_u32_e32 v12, -1, v12
	s_delay_alu instid0(VALU_DEP_3) | instskip(SKIP_1) | instid1(VALU_DEP_2)
	v_mul_lo_u32 v14, 0xbc8f, v14
	v_sub_nc_u32_e32 v16, 0, v13
	v_cmp_lt_u32_e32 vcc_lo, v14, v13
	s_delay_alu instid0(VALU_DEP_2) | instskip(NEXT) | instid1(VALU_DEP_1)
	v_cndmask_b32_e32 v13, v16, v15, vcc_lo
	v_add_nc_u32_e32 v13, v13, v14
	s_delay_alu instid0(VALU_DEP_1) | instskip(NEXT) | instid1(VALU_DEP_1)
	v_mul_hi_u32 v14, 0xbc8f1391, v13
	v_lshrrev_b32_e32 v14, 15, v14
	s_delay_alu instid0(VALU_DEP_1) | instskip(SKIP_1) | instid1(VALU_DEP_2)
	v_mul_u32_u24_e32 v15, 0xadc8, v14
	v_mul_u32_u24_e32 v14, 0xd47, v14
	v_sub_nc_u32_e32 v15, v13, v15
	s_delay_alu instid0(VALU_DEP_2) | instskip(SKIP_1) | instid1(VALU_DEP_3)
	v_xor_b32_e32 v16, 0x7fffffff, v14
	v_dual_sub_nc_u32 v17, 0, v14 :: v_dual_add_nc_u32 v13, -1, v13
	v_mul_lo_u32 v15, 0xbc8f, v15
	s_delay_alu instid0(VALU_DEP_1) | instskip(NEXT) | instid1(VALU_DEP_3)
	v_cmp_lt_u32_e32 vcc_lo, v15, v14
	v_cndmask_b32_e32 v14, v17, v16, vcc_lo
	s_delay_alu instid0(VALU_DEP_1) | instskip(NEXT) | instid1(VALU_DEP_1)
	v_add_nc_u32_e32 v16, v14, v15
	v_mul_hi_u32 v14, 0xbc8f1391, v16
	s_delay_alu instid0(VALU_DEP_1) | instskip(NEXT) | instid1(VALU_DEP_1)
	v_lshrrev_b32_e32 v14, 15, v14
	v_mul_u32_u24_e32 v15, 0xadc8, v14
	s_delay_alu instid0(VALU_DEP_1) | instskip(NEXT) | instid1(VALU_DEP_1)
	v_sub_nc_u32_e32 v15, v16, v15
	v_mul_lo_u32 v17, 0xbc8f, v15
	v_mul_u32_u24_e32 v15, 0xd47, v14
	v_cvt_f32_u32_e32 v14, v12
	s_delay_alu instid0(VALU_DEP_2) | instskip(SKIP_4) | instid1(VALU_DEP_2)
	v_xor_b32_e32 v12, 0x7fffffff, v15
	v_sub_nc_u32_e32 v19, 0, v15
	v_cmp_lt_u32_e32 vcc_lo, v17, v15
	v_cvt_f32_u32_e32 v15, v13
	v_add_nc_u32_e32 v13, -1, v16
	v_pk_fma_f32 v[14:15], v[14:15], s[4:5], 0 op_sel_hi:[1,0,0]
	s_delay_alu instid0(VALU_DEP_2) | instskip(NEXT) | instid1(VALU_DEP_2)
	v_cvt_f32_u32_e32 v16, v13
	v_pk_mul_f32 v[14:15], v[14:15], v[14:15]
	s_delay_alu instid0(VALU_DEP_1) | instskip(NEXT) | instid1(VALU_DEP_1)
	v_dual_cndmask_b32 v12, v19, v12 :: v_dual_add_f32 v13, v14, v15
	v_add_nc_u32_e32 v12, v12, v17
	s_delay_alu instid0(VALU_DEP_2) | instskip(NEXT) | instid1(VALU_DEP_2)
	v_cmp_gt_f32_e32 vcc_lo, 0xf800000, v13
	v_add_nc_u32_e32 v17, -1, v12
	s_delay_alu instid0(VALU_DEP_1) | instskip(NEXT) | instid1(VALU_DEP_1)
	v_cvt_f32_u32_e32 v17, v17
	v_pk_fma_f32 v[14:15], v[16:17], s[4:5], 0 op_sel_hi:[1,0,0]
	v_mul_f32_e32 v16, 0x4f800000, v13
	s_add_co_i32 s5, s5, -2
	s_delay_alu instid0(SALU_CYCLE_1) | instskip(NEXT) | instid1(VALU_DEP_2)
	s_cmp_lg_u32 s5, 0
	v_pk_mul_f32 v[14:15], v[14:15], v[14:15]
	s_delay_alu instid0(VALU_DEP_1) | instskip(NEXT) | instid1(VALU_DEP_1)
	v_dual_add_f32 v14, v14, v15 :: v_dual_cndmask_b32 v13, v13, v16
	v_mul_f32_e32 v16, 0x4f800000, v14
	s_delay_alu instid0(VALU_DEP_2)
	v_sqrt_f32_e32 v15, v13
	v_cmp_gt_f32_e64 s2, 0xf800000, v14
	s_delay_alu instid0(TRANS32_DEP_1) | instid1(VALU_DEP_1)
	v_dual_cndmask_b32 v14, v14, v16, s2 :: v_dual_add_nc_u32 v17, -1, v15
	v_add_nc_u32_e32 v16, 1, v15
	s_delay_alu instid0(VALU_DEP_2) | instskip(NEXT) | instid1(VALU_DEP_2)
	v_sqrt_f32_e32 v20, v14
	v_fma_f32 v19, -v17, v15, v13
	s_delay_alu instid0(VALU_DEP_1) | instskip(NEXT) | instid1(VALU_DEP_1)
	v_cmp_ge_f32_e64 s3, 0, v19
	v_dual_fma_f32 v21, -v16, v15, v13 :: v_dual_cndmask_b32 v15, v15, v17, s3
	s_delay_alu instid0(VALU_DEP_1) | instskip(NEXT) | instid1(TRANS32_DEP_1)
	v_cmp_lt_f32_e64 s3, 0, v21
	v_add_nc_u32_e32 v17, -1, v20
	s_delay_alu instid0(VALU_DEP_2) | instskip(NEXT) | instid1(VALU_DEP_2)
	v_cndmask_b32_e64 v15, v15, v16, s3
	v_dual_add_nc_u32 v16, 1, v20 :: v_dual_fma_f32 v19, -v17, v20, v14
	s_delay_alu instid0(VALU_DEP_1) | instskip(NEXT) | instid1(VALU_DEP_2)
	v_fma_f32 v22, -v16, v20, v14
	v_cmp_ge_f32_e64 s3, 0, v19
	s_delay_alu instid0(VALU_DEP_1) | instskip(SKIP_1) | instid1(VALU_DEP_4)
	v_cndmask_b32_e64 v17, v20, v17, s3
	v_mul_f32_e32 v21, 0x37800000, v15
	v_cmp_lt_f32_e64 s3, 0, v22
	s_delay_alu instid0(VALU_DEP_1) | instskip(SKIP_1) | instid1(VALU_DEP_2)
	v_dual_cndmask_b32 v15, v15, v21, vcc_lo :: v_dual_cndmask_b32 v16, v17, v16, s3
	v_cmp_class_f32_e64 vcc_lo, v13, 0x260
	v_cndmask_b32_e32 v13, v15, v13, vcc_lo
	s_delay_alu instid0(VALU_DEP_3) | instskip(NEXT) | instid1(VALU_DEP_2)
	v_mul_f32_e32 v15, 0x37800000, v16
	v_cmp_nge_f32_e32 vcc_lo, 1.0, v13
	s_delay_alu instid0(VALU_DEP_2) | instskip(SKIP_2) | instid1(VALU_DEP_1)
	v_cndmask_b32_e64 v13, v16, v15, s2
	v_cndmask_b32_e32 v11, v18, v11, vcc_lo
	v_cmp_class_f32_e64 vcc_lo, v14, 0x260
	v_dual_add_f32 v15, 1.0, v11 :: v_dual_cndmask_b32 v13, v13, v14, vcc_lo
	s_delay_alu instid0(VALU_DEP_1) | instskip(NEXT) | instid1(VALU_DEP_2)
	v_cmp_nge_f32_e32 vcc_lo, 1.0, v13
	v_cndmask_b32_e32 v11, v15, v11, vcc_lo
	s_cbranch_scc1 .LBB27_24
; %bb.25:
	v_add_nc_u32_e32 v12, 0x7f756716, v6
	s_movk_i32 s5, 0x2710
	s_brev_b32 s4, 12
	s_delay_alu instid0(VALU_DEP_1) | instskip(NEXT) | instid1(VALU_DEP_1)
	v_lshrrev_b32_e32 v13, 19, v12
	v_xor3_b32 v12, v12, v13, 0xc761c23c
	s_delay_alu instid0(VALU_DEP_1) | instskip(NEXT) | instid1(VALU_DEP_1)
	v_lshl_add_u32 v12, v12, 5, v12
	v_add_nc_u32_e32 v13, 0xe9f8cc1d, v12
	v_lshl_add_u32 v12, v12, 9, 0xaccf6200
	s_delay_alu instid0(VALU_DEP_1) | instskip(NEXT) | instid1(VALU_DEP_1)
	v_xor_b32_e32 v12, v13, v12
	v_lshlrev_b32_e32 v13, 3, v12
	s_delay_alu instid0(VALU_DEP_1) | instskip(NEXT) | instid1(VALU_DEP_1)
	v_add3_u32 v12, v12, v13, 0xfd7046c5
	v_lshrrev_b32_e32 v13, 16, v12
	s_delay_alu instid0(VALU_DEP_1) | instskip(NEXT) | instid1(VALU_DEP_1)
	v_xor3_b32 v12, v12, v13, 0xb55a4f09
	v_mul_hi_u32 v13, v12, 3
	s_delay_alu instid0(VALU_DEP_1) | instskip(NEXT) | instid1(VALU_DEP_1)
	v_sub_nc_u32_e32 v14, v12, v13
	v_lshrrev_b32_e32 v14, 1, v14
	s_delay_alu instid0(VALU_DEP_1) | instskip(NEXT) | instid1(VALU_DEP_1)
	v_add_nc_u32_e32 v13, v14, v13
	v_lshrrev_b32_e32 v13, 30, v13
	s_delay_alu instid0(VALU_DEP_1) | instskip(NEXT) | instid1(VALU_DEP_1)
	v_mul_lo_u32 v13, 0x7fffffff, v13
	v_sub_nc_u32_e32 v12, v12, v13
	s_delay_alu instid0(VALU_DEP_1)
	v_max_u32_e32 v13, 1, v12
	v_mov_b32_e32 v12, 0
.LBB27_26:                              ; =>This Inner Loop Header: Depth=1
	s_delay_alu instid0(VALU_DEP_2) | instskip(NEXT) | instid1(VALU_DEP_1)
	v_mul_hi_u32 v14, 0xbc8f1391, v13
	v_lshrrev_b32_e32 v14, 15, v14
	s_delay_alu instid0(VALU_DEP_1) | instskip(NEXT) | instid1(VALU_DEP_1)
	v_mul_u32_u24_e32 v15, 0xadc8, v14
	v_sub_nc_u32_e32 v13, v13, v15
	v_mul_u32_u24_e32 v14, 0xd47, v14
	s_delay_alu instid0(VALU_DEP_2) | instskip(NEXT) | instid1(VALU_DEP_2)
	v_mul_lo_u32 v13, 0xbc8f, v13
	v_xor_b32_e32 v15, 0x7fffffff, v14
	v_sub_nc_u32_e32 v16, 0, v14
	s_delay_alu instid0(VALU_DEP_3) | instskip(NEXT) | instid1(VALU_DEP_2)
	v_cmp_lt_u32_e32 vcc_lo, v13, v14
	v_cndmask_b32_e32 v14, v16, v15, vcc_lo
	s_delay_alu instid0(VALU_DEP_1) | instskip(NEXT) | instid1(VALU_DEP_1)
	v_add_nc_u32_e32 v13, v14, v13
	v_mul_hi_u32 v14, 0xbc8f1391, v13
	s_delay_alu instid0(VALU_DEP_1) | instskip(NEXT) | instid1(VALU_DEP_1)
	v_lshrrev_b32_e32 v14, 15, v14
	v_mul_u32_u24_e32 v15, 0xadc8, v14
	v_mul_u32_u24_e32 v14, 0xd47, v14
	s_delay_alu instid0(VALU_DEP_2) | instskip(NEXT) | instid1(VALU_DEP_2)
	v_sub_nc_u32_e32 v15, v13, v15
	v_xor_b32_e32 v16, 0x7fffffff, v14
	v_add_nc_u32_e32 v13, -1, v13
	s_delay_alu instid0(VALU_DEP_3) | instskip(SKIP_1) | instid1(VALU_DEP_2)
	v_mul_lo_u32 v15, 0xbc8f, v15
	v_sub_nc_u32_e32 v17, 0, v14
	v_cmp_lt_u32_e32 vcc_lo, v15, v14
	s_delay_alu instid0(VALU_DEP_2) | instskip(NEXT) | instid1(VALU_DEP_1)
	v_cndmask_b32_e32 v14, v17, v16, vcc_lo
	v_add_nc_u32_e32 v15, v14, v15
	s_delay_alu instid0(VALU_DEP_1) | instskip(NEXT) | instid1(VALU_DEP_1)
	v_mul_hi_u32 v14, 0xbc8f1391, v15
	v_lshrrev_b32_e32 v14, 15, v14
	s_delay_alu instid0(VALU_DEP_1) | instskip(SKIP_1) | instid1(VALU_DEP_2)
	v_mul_u32_u24_e32 v16, 0xadc8, v14
	v_mul_u32_u24_e32 v14, 0xd47, v14
	v_sub_nc_u32_e32 v16, v15, v16
	s_delay_alu instid0(VALU_DEP_2) | instskip(NEXT) | instid1(VALU_DEP_2)
	v_xor_b32_e32 v17, 0x7fffffff, v14
	v_mul_lo_u32 v16, 0xbc8f, v16
	v_sub_nc_u32_e32 v18, 0, v14
	s_delay_alu instid0(VALU_DEP_2) | instskip(NEXT) | instid1(VALU_DEP_2)
	v_cmp_lt_u32_e32 vcc_lo, v16, v14
	v_dual_cndmask_b32 v14, v18, v17, vcc_lo :: v_dual_add_f32 v18, 1.0, v12
	s_delay_alu instid0(VALU_DEP_1) | instskip(NEXT) | instid1(VALU_DEP_1)
	v_add_nc_u32_e32 v16, v14, v16
	v_mul_hi_u32 v14, 0xbc8f1391, v16
	s_delay_alu instid0(VALU_DEP_1) | instskip(NEXT) | instid1(VALU_DEP_1)
	v_lshrrev_b32_e32 v14, 15, v14
	v_mul_u32_u24_e32 v17, 0xadc8, v14
	v_mul_u32_u24_e32 v19, 0xd47, v14
	v_cvt_f32_u32_e32 v14, v13
	s_delay_alu instid0(VALU_DEP_3) | instskip(NEXT) | instid1(VALU_DEP_3)
	v_sub_nc_u32_e32 v17, v16, v17
	v_xor_b32_e32 v13, 0x7fffffff, v19
	v_dual_sub_nc_u32 v20, 0, v19 :: v_dual_add_nc_u32 v16, -1, v16
	s_delay_alu instid0(VALU_DEP_3) | instskip(NEXT) | instid1(VALU_DEP_2)
	v_mul_lo_u32 v17, 0xbc8f, v17
	v_cvt_f32_u32_e32 v16, v16
	s_delay_alu instid0(VALU_DEP_2) | instskip(NEXT) | instid1(VALU_DEP_4)
	v_cmp_lt_u32_e32 vcc_lo, v17, v19
	v_dual_add_nc_u32 v15, -1, v15 :: v_dual_cndmask_b32 v13, v20, v13, vcc_lo
	s_delay_alu instid0(VALU_DEP_1) | instskip(NEXT) | instid1(VALU_DEP_2)
	v_cvt_f32_u32_e32 v15, v15
	v_add_nc_u32_e32 v13, v13, v17
	s_delay_alu instid0(VALU_DEP_2) | instskip(NEXT) | instid1(VALU_DEP_1)
	v_pk_fma_f32 v[14:15], v[14:15], s[4:5], 0 op_sel_hi:[1,0,0]
	v_pk_mul_f32 v[14:15], v[14:15], v[14:15]
	s_delay_alu instid0(VALU_DEP_1) | instskip(NEXT) | instid1(VALU_DEP_1)
	v_dual_add_nc_u32 v17, -1, v13 :: v_dual_add_f32 v19, v14, v15
	v_cvt_f32_u32_e32 v17, v17
	s_delay_alu instid0(VALU_DEP_2) | instskip(NEXT) | instid1(VALU_DEP_2)
	v_cmp_gt_f32_e32 vcc_lo, 0xf800000, v19
	v_pk_fma_f32 v[14:15], v[16:17], s[4:5], 0 op_sel_hi:[1,0,0]
	s_add_co_i32 s5, s5, -2
	s_delay_alu instid0(SALU_CYCLE_1) | instskip(NEXT) | instid1(VALU_DEP_1)
	s_cmp_lg_u32 s5, 0
	v_pk_mul_f32 v[14:15], v[14:15], v[14:15]
	s_delay_alu instid0(VALU_DEP_1) | instskip(NEXT) | instid1(VALU_DEP_1)
	v_add_f32_e32 v14, v14, v15
	v_dual_mul_f32 v16, 0x4f800000, v19 :: v_dual_mul_f32 v17, 0x4f800000, v14
	s_delay_alu instid0(VALU_DEP_1) | instskip(SKIP_1) | instid1(VALU_DEP_2)
	v_cndmask_b32_e32 v16, v19, v16, vcc_lo
	v_cmp_gt_f32_e64 s2, 0xf800000, v14
	v_sqrt_f32_e32 v15, v16
	v_nop
	s_delay_alu instid0(TRANS32_DEP_1) | instskip(NEXT) | instid1(VALU_DEP_1)
	v_dual_add_nc_u32 v19, -1, v15 :: v_dual_cndmask_b32 v14, v14, v17, s2
	v_dual_add_nc_u32 v17, 1, v15 :: v_dual_fma_f32 v20, -v19, v15, v16
	s_delay_alu instid0(VALU_DEP_2) | instskip(NEXT) | instid1(VALU_DEP_1)
	v_sqrt_f32_e32 v21, v14
	v_fma_f32 v22, -v17, v15, v16
	s_delay_alu instid0(VALU_DEP_2)
	v_cmp_ge_f32_e64 s3, 0, v20
	s_delay_alu instid0(TRANS32_DEP_1) | instid1(VALU_DEP_1)
	v_dual_cndmask_b32 v15, v15, v19, s3 :: v_dual_add_nc_u32 v19, -1, v21
	s_delay_alu instid0(VALU_DEP_3) | instskip(NEXT) | instid1(VALU_DEP_1)
	v_cmp_lt_f32_e64 s3, 0, v22
	v_cndmask_b32_e64 v15, v15, v17, s3
	s_delay_alu instid0(VALU_DEP_3) | instskip(NEXT) | instid1(VALU_DEP_1)
	v_dual_add_nc_u32 v17, 1, v21 :: v_dual_fma_f32 v20, -v19, v21, v14
	v_fma_f32 v23, -v17, v21, v14
	s_delay_alu instid0(VALU_DEP_2) | instskip(NEXT) | instid1(VALU_DEP_1)
	v_cmp_ge_f32_e64 s3, 0, v20
	v_cndmask_b32_e64 v19, v21, v19, s3
	v_mul_f32_e32 v22, 0x37800000, v15
	s_delay_alu instid0(VALU_DEP_4) | instskip(NEXT) | instid1(VALU_DEP_1)
	v_cmp_lt_f32_e64 s3, 0, v23
	v_cndmask_b32_e64 v17, v19, v17, s3
	s_delay_alu instid0(VALU_DEP_3) | instskip(SKIP_1) | instid1(VALU_DEP_2)
	v_cndmask_b32_e32 v15, v15, v22, vcc_lo
	v_cmp_class_f32_e64 vcc_lo, v16, 0x260
	v_cndmask_b32_e32 v15, v15, v16, vcc_lo
	s_delay_alu instid0(VALU_DEP_1) | instskip(SKIP_3) | instid1(VALU_DEP_2)
	v_cmp_nge_f32_e32 vcc_lo, 1.0, v15
	v_cndmask_b32_e32 v12, v18, v12, vcc_lo
	v_mul_f32_e32 v16, 0x37800000, v17
	v_cmp_class_f32_e64 vcc_lo, v14, 0x260
	v_cndmask_b32_e64 v15, v17, v16, s2
	s_delay_alu instid0(VALU_DEP_1) | instskip(NEXT) | instid1(VALU_DEP_1)
	v_dual_add_f32 v16, 1.0, v12 :: v_dual_cndmask_b32 v14, v15, v14, vcc_lo
	v_cmp_nge_f32_e32 vcc_lo, 1.0, v14
	s_delay_alu instid0(VALU_DEP_2)
	v_cndmask_b32_e32 v12, v16, v12, vcc_lo
	s_cbranch_scc1 .LBB27_26
; %bb.27:
	v_add_nc_u32_e32 v13, 0x7f856816, v6
	s_movk_i32 s5, 0x2710
	s_brev_b32 s4, 12
	s_delay_alu instid0(VALU_DEP_1) | instskip(NEXT) | instid1(VALU_DEP_1)
	v_lshrrev_b32_e32 v14, 19, v13
	v_xor3_b32 v13, v13, v14, 0xc761c23c
	s_delay_alu instid0(VALU_DEP_1) | instskip(NEXT) | instid1(VALU_DEP_1)
	v_lshl_add_u32 v13, v13, 5, v13
	v_add_nc_u32_e32 v14, 0xe9f8cc1d, v13
	v_lshl_add_u32 v13, v13, 9, 0xaccf6200
	s_delay_alu instid0(VALU_DEP_1) | instskip(NEXT) | instid1(VALU_DEP_1)
	v_xor_b32_e32 v13, v14, v13
	v_lshlrev_b32_e32 v14, 3, v13
	s_delay_alu instid0(VALU_DEP_1) | instskip(NEXT) | instid1(VALU_DEP_1)
	v_add3_u32 v13, v13, v14, 0xfd7046c5
	v_lshrrev_b32_e32 v14, 16, v13
	s_delay_alu instid0(VALU_DEP_1) | instskip(NEXT) | instid1(VALU_DEP_1)
	v_xor3_b32 v13, v13, v14, 0xb55a4f09
	v_mul_hi_u32 v14, v13, 3
	s_delay_alu instid0(VALU_DEP_1) | instskip(NEXT) | instid1(VALU_DEP_1)
	v_sub_nc_u32_e32 v15, v13, v14
	v_lshrrev_b32_e32 v15, 1, v15
	s_delay_alu instid0(VALU_DEP_1) | instskip(NEXT) | instid1(VALU_DEP_1)
	v_add_nc_u32_e32 v14, v15, v14
	v_lshrrev_b32_e32 v14, 30, v14
	s_delay_alu instid0(VALU_DEP_1) | instskip(NEXT) | instid1(VALU_DEP_1)
	v_mul_lo_u32 v14, 0x7fffffff, v14
	v_sub_nc_u32_e32 v13, v13, v14
	s_delay_alu instid0(VALU_DEP_1)
	v_max_u32_e32 v14, 1, v13
	v_mov_b32_e32 v13, 0
.LBB27_28:                              ; =>This Inner Loop Header: Depth=1
	s_delay_alu instid0(VALU_DEP_2) | instskip(NEXT) | instid1(VALU_DEP_1)
	v_mul_hi_u32 v15, 0xbc8f1391, v14
	v_dual_add_f32 v20, 1.0, v13 :: v_dual_lshrrev_b32 v15, 15, v15
	s_delay_alu instid0(VALU_DEP_1) | instskip(NEXT) | instid1(VALU_DEP_1)
	v_mul_u32_u24_e32 v16, 0xadc8, v15
	v_sub_nc_u32_e32 v14, v14, v16
	v_mul_u32_u24_e32 v15, 0xd47, v15
	s_delay_alu instid0(VALU_DEP_2) | instskip(NEXT) | instid1(VALU_DEP_2)
	v_mul_lo_u32 v14, 0xbc8f, v14
	v_xor_b32_e32 v16, 0x7fffffff, v15
	v_sub_nc_u32_e32 v17, 0, v15
	s_delay_alu instid0(VALU_DEP_3) | instskip(NEXT) | instid1(VALU_DEP_2)
	v_cmp_lt_u32_e32 vcc_lo, v14, v15
	v_cndmask_b32_e32 v15, v17, v16, vcc_lo
	s_delay_alu instid0(VALU_DEP_1) | instskip(NEXT) | instid1(VALU_DEP_1)
	v_add_nc_u32_e32 v14, v15, v14
	v_mul_hi_u32 v15, 0xbc8f1391, v14
	s_delay_alu instid0(VALU_DEP_1) | instskip(NEXT) | instid1(VALU_DEP_1)
	v_lshrrev_b32_e32 v15, 15, v15
	v_mul_u32_u24_e32 v16, 0xadc8, v15
	v_mul_u32_u24_e32 v15, 0xd47, v15
	s_delay_alu instid0(VALU_DEP_2) | instskip(NEXT) | instid1(VALU_DEP_2)
	v_sub_nc_u32_e32 v16, v14, v16
	v_xor_b32_e32 v17, 0x7fffffff, v15
	v_add_nc_u32_e32 v14, -1, v14
	s_delay_alu instid0(VALU_DEP_3) | instskip(SKIP_1) | instid1(VALU_DEP_2)
	v_mul_lo_u32 v16, 0xbc8f, v16
	v_sub_nc_u32_e32 v18, 0, v15
	v_cmp_lt_u32_e32 vcc_lo, v16, v15
	s_delay_alu instid0(VALU_DEP_2) | instskip(NEXT) | instid1(VALU_DEP_1)
	v_cndmask_b32_e32 v15, v18, v17, vcc_lo
	v_add_nc_u32_e32 v15, v15, v16
	s_delay_alu instid0(VALU_DEP_1) | instskip(NEXT) | instid1(VALU_DEP_1)
	v_mul_hi_u32 v16, 0xbc8f1391, v15
	v_lshrrev_b32_e32 v16, 15, v16
	s_delay_alu instid0(VALU_DEP_1) | instskip(SKIP_1) | instid1(VALU_DEP_2)
	v_mul_u32_u24_e32 v17, 0xadc8, v16
	v_mul_u32_u24_e32 v16, 0xd47, v16
	v_sub_nc_u32_e32 v17, v15, v17
	s_delay_alu instid0(VALU_DEP_2) | instskip(SKIP_1) | instid1(VALU_DEP_3)
	v_xor_b32_e32 v18, 0x7fffffff, v16
	v_dual_sub_nc_u32 v19, 0, v16 :: v_dual_add_nc_u32 v15, -1, v15
	v_mul_lo_u32 v17, 0xbc8f, v17
	s_delay_alu instid0(VALU_DEP_1) | instskip(NEXT) | instid1(VALU_DEP_3)
	v_cmp_lt_u32_e32 vcc_lo, v17, v16
	v_cndmask_b32_e32 v16, v19, v18, vcc_lo
	s_delay_alu instid0(VALU_DEP_1) | instskip(NEXT) | instid1(VALU_DEP_1)
	v_add_nc_u32_e32 v18, v16, v17
	v_mul_hi_u32 v16, 0xbc8f1391, v18
	s_delay_alu instid0(VALU_DEP_1) | instskip(NEXT) | instid1(VALU_DEP_1)
	v_lshrrev_b32_e32 v16, 15, v16
	v_mul_u32_u24_e32 v17, 0xadc8, v16
	s_delay_alu instid0(VALU_DEP_1) | instskip(NEXT) | instid1(VALU_DEP_1)
	v_sub_nc_u32_e32 v17, v18, v17
	v_mul_lo_u32 v19, 0xbc8f, v17
	v_mul_u32_u24_e32 v17, 0xd47, v16
	v_cvt_f32_u32_e32 v16, v14
	s_delay_alu instid0(VALU_DEP_2) | instskip(SKIP_4) | instid1(VALU_DEP_2)
	v_xor_b32_e32 v14, 0x7fffffff, v17
	v_sub_nc_u32_e32 v21, 0, v17
	v_cmp_lt_u32_e32 vcc_lo, v19, v17
	v_cvt_f32_u32_e32 v17, v15
	v_add_nc_u32_e32 v15, -1, v18
	v_pk_fma_f32 v[16:17], v[16:17], s[4:5], 0 op_sel_hi:[1,0,0]
	s_delay_alu instid0(VALU_DEP_2) | instskip(NEXT) | instid1(VALU_DEP_2)
	v_cvt_f32_u32_e32 v18, v15
	v_pk_mul_f32 v[16:17], v[16:17], v[16:17]
	s_delay_alu instid0(VALU_DEP_1) | instskip(NEXT) | instid1(VALU_DEP_1)
	v_dual_cndmask_b32 v14, v21, v14 :: v_dual_add_f32 v15, v16, v17
	v_add_nc_u32_e32 v14, v14, v19
	s_delay_alu instid0(VALU_DEP_2) | instskip(NEXT) | instid1(VALU_DEP_2)
	v_cmp_gt_f32_e32 vcc_lo, 0xf800000, v15
	v_add_nc_u32_e32 v19, -1, v14
	s_delay_alu instid0(VALU_DEP_1) | instskip(NEXT) | instid1(VALU_DEP_1)
	v_cvt_f32_u32_e32 v19, v19
	v_pk_fma_f32 v[16:17], v[18:19], s[4:5], 0 op_sel_hi:[1,0,0]
	v_mul_f32_e32 v18, 0x4f800000, v15
	s_add_co_i32 s5, s5, -2
	s_delay_alu instid0(SALU_CYCLE_1) | instskip(NEXT) | instid1(VALU_DEP_2)
	s_cmp_lg_u32 s5, 0
	v_pk_mul_f32 v[16:17], v[16:17], v[16:17]
	s_delay_alu instid0(VALU_DEP_1) | instskip(NEXT) | instid1(VALU_DEP_1)
	v_dual_add_f32 v16, v16, v17 :: v_dual_cndmask_b32 v15, v15, v18
	v_mul_f32_e32 v18, 0x4f800000, v16
	s_delay_alu instid0(VALU_DEP_2)
	v_sqrt_f32_e32 v17, v15
	v_cmp_gt_f32_e64 s2, 0xf800000, v16
	s_delay_alu instid0(TRANS32_DEP_1) | instid1(VALU_DEP_1)
	v_dual_cndmask_b32 v16, v16, v18, s2 :: v_dual_add_nc_u32 v19, -1, v17
	v_add_nc_u32_e32 v18, 1, v17
	s_delay_alu instid0(VALU_DEP_2) | instskip(NEXT) | instid1(VALU_DEP_2)
	v_sqrt_f32_e32 v22, v16
	v_fma_f32 v21, -v19, v17, v15
	s_delay_alu instid0(VALU_DEP_1) | instskip(NEXT) | instid1(VALU_DEP_1)
	v_cmp_ge_f32_e64 s3, 0, v21
	v_dual_fma_f32 v23, -v18, v17, v15 :: v_dual_cndmask_b32 v17, v17, v19, s3
	s_delay_alu instid0(VALU_DEP_1) | instskip(NEXT) | instid1(TRANS32_DEP_1)
	v_cmp_lt_f32_e64 s3, 0, v23
	v_add_nc_u32_e32 v19, -1, v22
	s_delay_alu instid0(VALU_DEP_2) | instskip(NEXT) | instid1(VALU_DEP_2)
	v_cndmask_b32_e64 v17, v17, v18, s3
	v_dual_add_nc_u32 v18, 1, v22 :: v_dual_fma_f32 v21, -v19, v22, v16
	s_delay_alu instid0(VALU_DEP_1) | instskip(NEXT) | instid1(VALU_DEP_2)
	v_fma_f32 v24, -v18, v22, v16
	v_cmp_ge_f32_e64 s3, 0, v21
	s_delay_alu instid0(VALU_DEP_1) | instskip(SKIP_1) | instid1(VALU_DEP_4)
	v_cndmask_b32_e64 v19, v22, v19, s3
	v_mul_f32_e32 v23, 0x37800000, v17
	v_cmp_lt_f32_e64 s3, 0, v24
	s_delay_alu instid0(VALU_DEP_1) | instskip(SKIP_1) | instid1(VALU_DEP_2)
	v_dual_cndmask_b32 v17, v17, v23, vcc_lo :: v_dual_cndmask_b32 v18, v19, v18, s3
	v_cmp_class_f32_e64 vcc_lo, v15, 0x260
	v_cndmask_b32_e32 v15, v17, v15, vcc_lo
	s_delay_alu instid0(VALU_DEP_3) | instskip(NEXT) | instid1(VALU_DEP_2)
	v_mul_f32_e32 v17, 0x37800000, v18
	v_cmp_nge_f32_e32 vcc_lo, 1.0, v15
	s_delay_alu instid0(VALU_DEP_2) | instskip(SKIP_2) | instid1(VALU_DEP_1)
	v_cndmask_b32_e64 v15, v18, v17, s2
	v_cndmask_b32_e32 v13, v20, v13, vcc_lo
	v_cmp_class_f32_e64 vcc_lo, v16, 0x260
	v_dual_add_f32 v17, 1.0, v13 :: v_dual_cndmask_b32 v15, v15, v16, vcc_lo
	s_delay_alu instid0(VALU_DEP_1) | instskip(NEXT) | instid1(VALU_DEP_2)
	v_cmp_nge_f32_e32 vcc_lo, 1.0, v15
	v_cndmask_b32_e32 v13, v17, v13, vcc_lo
	s_cbranch_scc1 .LBB27_28
; %bb.29:
	v_add_nc_u32_e32 v14, 0x7f956916, v6
	s_movk_i32 s5, 0x2710
	s_brev_b32 s4, 12
	s_delay_alu instid0(VALU_DEP_1) | instskip(NEXT) | instid1(VALU_DEP_1)
	v_lshrrev_b32_e32 v15, 19, v14
	v_xor3_b32 v14, v14, v15, 0xc761c23c
	s_delay_alu instid0(VALU_DEP_1) | instskip(NEXT) | instid1(VALU_DEP_1)
	v_lshl_add_u32 v14, v14, 5, v14
	v_add_nc_u32_e32 v15, 0xe9f8cc1d, v14
	v_lshl_add_u32 v14, v14, 9, 0xaccf6200
	s_delay_alu instid0(VALU_DEP_1) | instskip(NEXT) | instid1(VALU_DEP_1)
	v_xor_b32_e32 v14, v15, v14
	v_lshlrev_b32_e32 v15, 3, v14
	s_delay_alu instid0(VALU_DEP_1) | instskip(NEXT) | instid1(VALU_DEP_1)
	v_add3_u32 v14, v14, v15, 0xfd7046c5
	v_lshrrev_b32_e32 v15, 16, v14
	s_delay_alu instid0(VALU_DEP_1) | instskip(NEXT) | instid1(VALU_DEP_1)
	v_xor3_b32 v14, v14, v15, 0xb55a4f09
	v_mul_hi_u32 v15, v14, 3
	s_delay_alu instid0(VALU_DEP_1) | instskip(NEXT) | instid1(VALU_DEP_1)
	v_sub_nc_u32_e32 v16, v14, v15
	v_lshrrev_b32_e32 v16, 1, v16
	s_delay_alu instid0(VALU_DEP_1) | instskip(NEXT) | instid1(VALU_DEP_1)
	v_add_nc_u32_e32 v15, v16, v15
	v_lshrrev_b32_e32 v15, 30, v15
	s_delay_alu instid0(VALU_DEP_1) | instskip(NEXT) | instid1(VALU_DEP_1)
	v_mul_lo_u32 v15, 0x7fffffff, v15
	v_sub_nc_u32_e32 v14, v14, v15
	s_delay_alu instid0(VALU_DEP_1)
	v_max_u32_e32 v15, 1, v14
	v_mov_b32_e32 v14, 0
.LBB27_30:                              ; =>This Inner Loop Header: Depth=1
	s_delay_alu instid0(VALU_DEP_2) | instskip(NEXT) | instid1(VALU_DEP_1)
	v_mul_hi_u32 v16, 0xbc8f1391, v15
	v_lshrrev_b32_e32 v16, 15, v16
	s_delay_alu instid0(VALU_DEP_1) | instskip(NEXT) | instid1(VALU_DEP_1)
	v_mul_u32_u24_e32 v17, 0xadc8, v16
	v_sub_nc_u32_e32 v15, v15, v17
	v_mul_u32_u24_e32 v16, 0xd47, v16
	s_delay_alu instid0(VALU_DEP_2) | instskip(NEXT) | instid1(VALU_DEP_2)
	v_mul_lo_u32 v15, 0xbc8f, v15
	v_xor_b32_e32 v17, 0x7fffffff, v16
	v_sub_nc_u32_e32 v18, 0, v16
	s_delay_alu instid0(VALU_DEP_3) | instskip(NEXT) | instid1(VALU_DEP_2)
	v_cmp_lt_u32_e32 vcc_lo, v15, v16
	v_cndmask_b32_e32 v16, v18, v17, vcc_lo
	s_delay_alu instid0(VALU_DEP_1) | instskip(NEXT) | instid1(VALU_DEP_1)
	v_add_nc_u32_e32 v15, v16, v15
	v_mul_hi_u32 v16, 0xbc8f1391, v15
	s_delay_alu instid0(VALU_DEP_1) | instskip(NEXT) | instid1(VALU_DEP_1)
	v_lshrrev_b32_e32 v16, 15, v16
	v_mul_u32_u24_e32 v17, 0xadc8, v16
	v_mul_u32_u24_e32 v16, 0xd47, v16
	s_delay_alu instid0(VALU_DEP_2) | instskip(NEXT) | instid1(VALU_DEP_2)
	v_sub_nc_u32_e32 v17, v15, v17
	v_xor_b32_e32 v18, 0x7fffffff, v16
	v_add_nc_u32_e32 v15, -1, v15
	s_delay_alu instid0(VALU_DEP_3) | instskip(SKIP_1) | instid1(VALU_DEP_2)
	v_mul_lo_u32 v17, 0xbc8f, v17
	v_sub_nc_u32_e32 v19, 0, v16
	v_cmp_lt_u32_e32 vcc_lo, v17, v16
	s_delay_alu instid0(VALU_DEP_2) | instskip(NEXT) | instid1(VALU_DEP_1)
	v_cndmask_b32_e32 v16, v19, v18, vcc_lo
	v_add_nc_u32_e32 v17, v16, v17
	s_delay_alu instid0(VALU_DEP_1) | instskip(NEXT) | instid1(VALU_DEP_1)
	v_mul_hi_u32 v16, 0xbc8f1391, v17
	v_lshrrev_b32_e32 v16, 15, v16
	s_delay_alu instid0(VALU_DEP_1) | instskip(SKIP_1) | instid1(VALU_DEP_2)
	v_mul_u32_u24_e32 v18, 0xadc8, v16
	v_mul_u32_u24_e32 v16, 0xd47, v16
	v_sub_nc_u32_e32 v18, v17, v18
	s_delay_alu instid0(VALU_DEP_2) | instskip(NEXT) | instid1(VALU_DEP_2)
	v_xor_b32_e32 v19, 0x7fffffff, v16
	v_mul_lo_u32 v18, 0xbc8f, v18
	v_sub_nc_u32_e32 v20, 0, v16
	s_delay_alu instid0(VALU_DEP_2) | instskip(NEXT) | instid1(VALU_DEP_2)
	v_cmp_lt_u32_e32 vcc_lo, v18, v16
	v_dual_cndmask_b32 v16, v20, v19, vcc_lo :: v_dual_add_f32 v20, 1.0, v14
	s_delay_alu instid0(VALU_DEP_1) | instskip(NEXT) | instid1(VALU_DEP_1)
	v_add_nc_u32_e32 v18, v16, v18
	v_mul_hi_u32 v16, 0xbc8f1391, v18
	s_delay_alu instid0(VALU_DEP_1) | instskip(NEXT) | instid1(VALU_DEP_1)
	v_lshrrev_b32_e32 v16, 15, v16
	v_mul_u32_u24_e32 v19, 0xadc8, v16
	v_mul_u32_u24_e32 v21, 0xd47, v16
	v_cvt_f32_u32_e32 v16, v15
	s_delay_alu instid0(VALU_DEP_3) | instskip(NEXT) | instid1(VALU_DEP_3)
	v_sub_nc_u32_e32 v19, v18, v19
	v_xor_b32_e32 v15, 0x7fffffff, v21
	v_dual_sub_nc_u32 v22, 0, v21 :: v_dual_add_nc_u32 v18, -1, v18
	s_delay_alu instid0(VALU_DEP_3) | instskip(NEXT) | instid1(VALU_DEP_2)
	v_mul_lo_u32 v19, 0xbc8f, v19
	v_cvt_f32_u32_e32 v18, v18
	s_delay_alu instid0(VALU_DEP_2) | instskip(NEXT) | instid1(VALU_DEP_4)
	v_cmp_lt_u32_e32 vcc_lo, v19, v21
	v_dual_add_nc_u32 v17, -1, v17 :: v_dual_cndmask_b32 v15, v22, v15, vcc_lo
	s_delay_alu instid0(VALU_DEP_1) | instskip(NEXT) | instid1(VALU_DEP_2)
	v_cvt_f32_u32_e32 v17, v17
	v_add_nc_u32_e32 v15, v15, v19
	s_delay_alu instid0(VALU_DEP_2) | instskip(NEXT) | instid1(VALU_DEP_1)
	v_pk_fma_f32 v[16:17], v[16:17], s[4:5], 0 op_sel_hi:[1,0,0]
	v_pk_mul_f32 v[16:17], v[16:17], v[16:17]
	s_delay_alu instid0(VALU_DEP_1) | instskip(NEXT) | instid1(VALU_DEP_1)
	v_dual_add_nc_u32 v19, -1, v15 :: v_dual_add_f32 v21, v16, v17
	v_cvt_f32_u32_e32 v19, v19
	s_delay_alu instid0(VALU_DEP_2) | instskip(NEXT) | instid1(VALU_DEP_2)
	v_cmp_gt_f32_e32 vcc_lo, 0xf800000, v21
	v_pk_fma_f32 v[16:17], v[18:19], s[4:5], 0 op_sel_hi:[1,0,0]
	s_add_co_i32 s5, s5, -2
	s_delay_alu instid0(SALU_CYCLE_1) | instskip(NEXT) | instid1(VALU_DEP_1)
	s_cmp_lg_u32 s5, 0
	v_pk_mul_f32 v[16:17], v[16:17], v[16:17]
	s_delay_alu instid0(VALU_DEP_1) | instskip(NEXT) | instid1(VALU_DEP_1)
	v_add_f32_e32 v16, v16, v17
	v_dual_mul_f32 v18, 0x4f800000, v21 :: v_dual_mul_f32 v19, 0x4f800000, v16
	s_delay_alu instid0(VALU_DEP_1) | instskip(SKIP_1) | instid1(VALU_DEP_2)
	v_cndmask_b32_e32 v18, v21, v18, vcc_lo
	v_cmp_gt_f32_e64 s2, 0xf800000, v16
	v_sqrt_f32_e32 v17, v18
	v_nop
	s_delay_alu instid0(TRANS32_DEP_1) | instskip(NEXT) | instid1(VALU_DEP_1)
	v_dual_add_nc_u32 v21, -1, v17 :: v_dual_cndmask_b32 v16, v16, v19, s2
	v_dual_add_nc_u32 v19, 1, v17 :: v_dual_fma_f32 v22, -v21, v17, v18
	s_delay_alu instid0(VALU_DEP_2) | instskip(NEXT) | instid1(VALU_DEP_1)
	v_sqrt_f32_e32 v23, v16
	v_fma_f32 v24, -v19, v17, v18
	s_delay_alu instid0(VALU_DEP_2)
	v_cmp_ge_f32_e64 s3, 0, v22
	s_delay_alu instid0(TRANS32_DEP_1) | instid1(VALU_DEP_1)
	v_dual_cndmask_b32 v17, v17, v21, s3 :: v_dual_add_nc_u32 v21, -1, v23
	s_delay_alu instid0(VALU_DEP_3) | instskip(NEXT) | instid1(VALU_DEP_1)
	v_cmp_lt_f32_e64 s3, 0, v24
	v_cndmask_b32_e64 v17, v17, v19, s3
	s_delay_alu instid0(VALU_DEP_3) | instskip(NEXT) | instid1(VALU_DEP_1)
	v_dual_add_nc_u32 v19, 1, v23 :: v_dual_fma_f32 v22, -v21, v23, v16
	v_fma_f32 v25, -v19, v23, v16
	s_delay_alu instid0(VALU_DEP_2) | instskip(NEXT) | instid1(VALU_DEP_1)
	v_cmp_ge_f32_e64 s3, 0, v22
	v_cndmask_b32_e64 v21, v23, v21, s3
	v_mul_f32_e32 v24, 0x37800000, v17
	s_delay_alu instid0(VALU_DEP_4) | instskip(NEXT) | instid1(VALU_DEP_1)
	v_cmp_lt_f32_e64 s3, 0, v25
	v_cndmask_b32_e64 v19, v21, v19, s3
	s_delay_alu instid0(VALU_DEP_3) | instskip(SKIP_1) | instid1(VALU_DEP_2)
	v_cndmask_b32_e32 v17, v17, v24, vcc_lo
	v_cmp_class_f32_e64 vcc_lo, v18, 0x260
	v_cndmask_b32_e32 v17, v17, v18, vcc_lo
	s_delay_alu instid0(VALU_DEP_1) | instskip(SKIP_3) | instid1(VALU_DEP_2)
	v_cmp_nge_f32_e32 vcc_lo, 1.0, v17
	v_cndmask_b32_e32 v14, v20, v14, vcc_lo
	v_mul_f32_e32 v18, 0x37800000, v19
	v_cmp_class_f32_e64 vcc_lo, v16, 0x260
	v_cndmask_b32_e64 v17, v19, v18, s2
	s_delay_alu instid0(VALU_DEP_1) | instskip(NEXT) | instid1(VALU_DEP_1)
	v_dual_add_f32 v18, 1.0, v14 :: v_dual_cndmask_b32 v16, v17, v16, vcc_lo
	v_cmp_nge_f32_e32 vcc_lo, 1.0, v16
	s_delay_alu instid0(VALU_DEP_2)
	v_cndmask_b32_e32 v14, v18, v14, vcc_lo
	s_cbranch_scc1 .LBB27_30
; %bb.31:
	v_add_nc_u32_e32 v15, 0x7fa56a16, v6
	s_movk_i32 s5, 0x2710
	s_brev_b32 s4, 12
	s_delay_alu instid0(VALU_DEP_1) | instskip(NEXT) | instid1(VALU_DEP_1)
	v_lshrrev_b32_e32 v16, 19, v15
	v_xor3_b32 v15, v15, v16, 0xc761c23c
	s_delay_alu instid0(VALU_DEP_1) | instskip(NEXT) | instid1(VALU_DEP_1)
	v_lshl_add_u32 v15, v15, 5, v15
	v_add_nc_u32_e32 v16, 0xe9f8cc1d, v15
	v_lshl_add_u32 v15, v15, 9, 0xaccf6200
	s_delay_alu instid0(VALU_DEP_1) | instskip(NEXT) | instid1(VALU_DEP_1)
	v_xor_b32_e32 v15, v16, v15
	v_lshlrev_b32_e32 v16, 3, v15
	s_delay_alu instid0(VALU_DEP_1) | instskip(NEXT) | instid1(VALU_DEP_1)
	v_add3_u32 v15, v15, v16, 0xfd7046c5
	v_lshrrev_b32_e32 v16, 16, v15
	s_delay_alu instid0(VALU_DEP_1) | instskip(NEXT) | instid1(VALU_DEP_1)
	v_xor3_b32 v15, v15, v16, 0xb55a4f09
	v_mul_hi_u32 v16, v15, 3
	s_delay_alu instid0(VALU_DEP_1) | instskip(NEXT) | instid1(VALU_DEP_1)
	v_sub_nc_u32_e32 v17, v15, v16
	v_lshrrev_b32_e32 v17, 1, v17
	s_delay_alu instid0(VALU_DEP_1) | instskip(NEXT) | instid1(VALU_DEP_1)
	v_add_nc_u32_e32 v16, v17, v16
	v_lshrrev_b32_e32 v16, 30, v16
	s_delay_alu instid0(VALU_DEP_1) | instskip(NEXT) | instid1(VALU_DEP_1)
	v_mul_lo_u32 v16, 0x7fffffff, v16
	v_sub_nc_u32_e32 v15, v15, v16
	s_delay_alu instid0(VALU_DEP_1)
	v_max_u32_e32 v16, 1, v15
	v_mov_b32_e32 v15, 0
.LBB27_32:                              ; =>This Inner Loop Header: Depth=1
	s_delay_alu instid0(VALU_DEP_2) | instskip(NEXT) | instid1(VALU_DEP_1)
	v_mul_hi_u32 v17, 0xbc8f1391, v16
	v_dual_add_f32 v22, 1.0, v15 :: v_dual_lshrrev_b32 v17, 15, v17
	s_delay_alu instid0(VALU_DEP_1) | instskip(NEXT) | instid1(VALU_DEP_1)
	v_mul_u32_u24_e32 v18, 0xadc8, v17
	v_sub_nc_u32_e32 v16, v16, v18
	v_mul_u32_u24_e32 v17, 0xd47, v17
	s_delay_alu instid0(VALU_DEP_2) | instskip(NEXT) | instid1(VALU_DEP_2)
	v_mul_lo_u32 v16, 0xbc8f, v16
	v_xor_b32_e32 v18, 0x7fffffff, v17
	v_sub_nc_u32_e32 v19, 0, v17
	s_delay_alu instid0(VALU_DEP_3) | instskip(NEXT) | instid1(VALU_DEP_2)
	v_cmp_lt_u32_e32 vcc_lo, v16, v17
	v_cndmask_b32_e32 v17, v19, v18, vcc_lo
	s_delay_alu instid0(VALU_DEP_1) | instskip(NEXT) | instid1(VALU_DEP_1)
	v_add_nc_u32_e32 v16, v17, v16
	v_mul_hi_u32 v17, 0xbc8f1391, v16
	s_delay_alu instid0(VALU_DEP_1) | instskip(NEXT) | instid1(VALU_DEP_1)
	v_lshrrev_b32_e32 v17, 15, v17
	v_mul_u32_u24_e32 v18, 0xadc8, v17
	v_mul_u32_u24_e32 v17, 0xd47, v17
	s_delay_alu instid0(VALU_DEP_2) | instskip(NEXT) | instid1(VALU_DEP_2)
	v_sub_nc_u32_e32 v18, v16, v18
	v_xor_b32_e32 v19, 0x7fffffff, v17
	v_add_nc_u32_e32 v16, -1, v16
	s_delay_alu instid0(VALU_DEP_3) | instskip(SKIP_1) | instid1(VALU_DEP_2)
	v_mul_lo_u32 v18, 0xbc8f, v18
	v_sub_nc_u32_e32 v20, 0, v17
	v_cmp_lt_u32_e32 vcc_lo, v18, v17
	s_delay_alu instid0(VALU_DEP_2) | instskip(NEXT) | instid1(VALU_DEP_1)
	v_cndmask_b32_e32 v17, v20, v19, vcc_lo
	v_add_nc_u32_e32 v17, v17, v18
	s_delay_alu instid0(VALU_DEP_1) | instskip(NEXT) | instid1(VALU_DEP_1)
	v_mul_hi_u32 v18, 0xbc8f1391, v17
	v_lshrrev_b32_e32 v18, 15, v18
	s_delay_alu instid0(VALU_DEP_1) | instskip(SKIP_1) | instid1(VALU_DEP_2)
	v_mul_u32_u24_e32 v19, 0xadc8, v18
	v_mul_u32_u24_e32 v18, 0xd47, v18
	v_sub_nc_u32_e32 v19, v17, v19
	s_delay_alu instid0(VALU_DEP_2) | instskip(SKIP_1) | instid1(VALU_DEP_3)
	v_xor_b32_e32 v20, 0x7fffffff, v18
	v_dual_sub_nc_u32 v21, 0, v18 :: v_dual_add_nc_u32 v17, -1, v17
	v_mul_lo_u32 v19, 0xbc8f, v19
	s_delay_alu instid0(VALU_DEP_1) | instskip(NEXT) | instid1(VALU_DEP_3)
	v_cmp_lt_u32_e32 vcc_lo, v19, v18
	v_cndmask_b32_e32 v18, v21, v20, vcc_lo
	s_delay_alu instid0(VALU_DEP_1) | instskip(NEXT) | instid1(VALU_DEP_1)
	v_add_nc_u32_e32 v20, v18, v19
	v_mul_hi_u32 v18, 0xbc8f1391, v20
	s_delay_alu instid0(VALU_DEP_1) | instskip(NEXT) | instid1(VALU_DEP_1)
	v_lshrrev_b32_e32 v18, 15, v18
	v_mul_u32_u24_e32 v19, 0xadc8, v18
	s_delay_alu instid0(VALU_DEP_1) | instskip(NEXT) | instid1(VALU_DEP_1)
	v_sub_nc_u32_e32 v19, v20, v19
	v_mul_lo_u32 v21, 0xbc8f, v19
	v_mul_u32_u24_e32 v19, 0xd47, v18
	v_cvt_f32_u32_e32 v18, v16
	s_delay_alu instid0(VALU_DEP_2) | instskip(SKIP_4) | instid1(VALU_DEP_2)
	v_xor_b32_e32 v16, 0x7fffffff, v19
	v_sub_nc_u32_e32 v23, 0, v19
	v_cmp_lt_u32_e32 vcc_lo, v21, v19
	v_cvt_f32_u32_e32 v19, v17
	v_add_nc_u32_e32 v17, -1, v20
	v_pk_fma_f32 v[18:19], v[18:19], s[4:5], 0 op_sel_hi:[1,0,0]
	s_delay_alu instid0(VALU_DEP_2) | instskip(NEXT) | instid1(VALU_DEP_2)
	v_cvt_f32_u32_e32 v20, v17
	v_pk_mul_f32 v[18:19], v[18:19], v[18:19]
	s_delay_alu instid0(VALU_DEP_1) | instskip(NEXT) | instid1(VALU_DEP_1)
	v_dual_cndmask_b32 v16, v23, v16 :: v_dual_add_f32 v17, v18, v19
	v_add_nc_u32_e32 v16, v16, v21
	s_delay_alu instid0(VALU_DEP_2) | instskip(NEXT) | instid1(VALU_DEP_2)
	v_cmp_gt_f32_e32 vcc_lo, 0xf800000, v17
	v_add_nc_u32_e32 v21, -1, v16
	s_delay_alu instid0(VALU_DEP_1) | instskip(NEXT) | instid1(VALU_DEP_1)
	v_cvt_f32_u32_e32 v21, v21
	v_pk_fma_f32 v[18:19], v[20:21], s[4:5], 0 op_sel_hi:[1,0,0]
	v_mul_f32_e32 v20, 0x4f800000, v17
	s_add_co_i32 s5, s5, -2
	s_delay_alu instid0(SALU_CYCLE_1) | instskip(NEXT) | instid1(VALU_DEP_2)
	s_cmp_lg_u32 s5, 0
	v_pk_mul_f32 v[18:19], v[18:19], v[18:19]
	s_delay_alu instid0(VALU_DEP_1) | instskip(NEXT) | instid1(VALU_DEP_1)
	v_dual_add_f32 v18, v18, v19 :: v_dual_cndmask_b32 v17, v17, v20
	v_mul_f32_e32 v20, 0x4f800000, v18
	s_delay_alu instid0(VALU_DEP_2)
	v_sqrt_f32_e32 v19, v17
	v_cmp_gt_f32_e64 s2, 0xf800000, v18
	s_delay_alu instid0(TRANS32_DEP_1) | instid1(VALU_DEP_1)
	v_dual_cndmask_b32 v18, v18, v20, s2 :: v_dual_add_nc_u32 v21, -1, v19
	v_add_nc_u32_e32 v20, 1, v19
	s_delay_alu instid0(VALU_DEP_2) | instskip(NEXT) | instid1(VALU_DEP_2)
	v_sqrt_f32_e32 v24, v18
	v_fma_f32 v23, -v21, v19, v17
	s_delay_alu instid0(VALU_DEP_1) | instskip(NEXT) | instid1(VALU_DEP_1)
	v_cmp_ge_f32_e64 s3, 0, v23
	v_dual_fma_f32 v25, -v20, v19, v17 :: v_dual_cndmask_b32 v19, v19, v21, s3
	s_delay_alu instid0(VALU_DEP_1) | instskip(NEXT) | instid1(TRANS32_DEP_1)
	v_cmp_lt_f32_e64 s3, 0, v25
	v_add_nc_u32_e32 v21, -1, v24
	s_delay_alu instid0(VALU_DEP_2) | instskip(NEXT) | instid1(VALU_DEP_2)
	v_cndmask_b32_e64 v19, v19, v20, s3
	v_dual_add_nc_u32 v20, 1, v24 :: v_dual_fma_f32 v23, -v21, v24, v18
	s_delay_alu instid0(VALU_DEP_1) | instskip(NEXT) | instid1(VALU_DEP_2)
	v_fma_f32 v26, -v20, v24, v18
	v_cmp_ge_f32_e64 s3, 0, v23
	s_delay_alu instid0(VALU_DEP_1) | instskip(SKIP_1) | instid1(VALU_DEP_4)
	v_cndmask_b32_e64 v21, v24, v21, s3
	v_mul_f32_e32 v25, 0x37800000, v19
	v_cmp_lt_f32_e64 s3, 0, v26
	s_delay_alu instid0(VALU_DEP_1) | instskip(SKIP_1) | instid1(VALU_DEP_2)
	v_dual_cndmask_b32 v19, v19, v25, vcc_lo :: v_dual_cndmask_b32 v20, v21, v20, s3
	v_cmp_class_f32_e64 vcc_lo, v17, 0x260
	v_cndmask_b32_e32 v17, v19, v17, vcc_lo
	s_delay_alu instid0(VALU_DEP_3) | instskip(NEXT) | instid1(VALU_DEP_2)
	v_mul_f32_e32 v19, 0x37800000, v20
	v_cmp_nge_f32_e32 vcc_lo, 1.0, v17
	s_delay_alu instid0(VALU_DEP_2) | instskip(SKIP_2) | instid1(VALU_DEP_1)
	v_cndmask_b32_e64 v17, v20, v19, s2
	v_cndmask_b32_e32 v15, v22, v15, vcc_lo
	v_cmp_class_f32_e64 vcc_lo, v18, 0x260
	v_dual_add_f32 v19, 1.0, v15 :: v_dual_cndmask_b32 v17, v17, v18, vcc_lo
	s_delay_alu instid0(VALU_DEP_1) | instskip(NEXT) | instid1(VALU_DEP_2)
	v_cmp_nge_f32_e32 vcc_lo, 1.0, v17
	v_cndmask_b32_e32 v15, v19, v15, vcc_lo
	s_cbranch_scc1 .LBB27_32
; %bb.33:
	v_add_nc_u32_e32 v16, 0x7fb56b16, v6
	s_movk_i32 s5, 0x2710
	s_brev_b32 s4, 12
	s_delay_alu instid0(VALU_DEP_1) | instskip(NEXT) | instid1(VALU_DEP_1)
	v_lshrrev_b32_e32 v17, 19, v16
	v_xor3_b32 v16, v16, v17, 0xc761c23c
	s_delay_alu instid0(VALU_DEP_1) | instskip(NEXT) | instid1(VALU_DEP_1)
	v_lshl_add_u32 v16, v16, 5, v16
	v_add_nc_u32_e32 v17, 0xe9f8cc1d, v16
	v_lshl_add_u32 v16, v16, 9, 0xaccf6200
	s_delay_alu instid0(VALU_DEP_1) | instskip(NEXT) | instid1(VALU_DEP_1)
	v_xor_b32_e32 v16, v17, v16
	v_lshlrev_b32_e32 v17, 3, v16
	s_delay_alu instid0(VALU_DEP_1) | instskip(NEXT) | instid1(VALU_DEP_1)
	v_add3_u32 v16, v16, v17, 0xfd7046c5
	v_lshrrev_b32_e32 v17, 16, v16
	s_delay_alu instid0(VALU_DEP_1) | instskip(NEXT) | instid1(VALU_DEP_1)
	v_xor3_b32 v16, v16, v17, 0xb55a4f09
	v_mul_hi_u32 v17, v16, 3
	s_delay_alu instid0(VALU_DEP_1) | instskip(NEXT) | instid1(VALU_DEP_1)
	v_sub_nc_u32_e32 v18, v16, v17
	v_lshrrev_b32_e32 v18, 1, v18
	s_delay_alu instid0(VALU_DEP_1) | instskip(NEXT) | instid1(VALU_DEP_1)
	v_add_nc_u32_e32 v17, v18, v17
	v_lshrrev_b32_e32 v17, 30, v17
	s_delay_alu instid0(VALU_DEP_1) | instskip(NEXT) | instid1(VALU_DEP_1)
	v_mul_lo_u32 v17, 0x7fffffff, v17
	v_sub_nc_u32_e32 v16, v16, v17
	s_delay_alu instid0(VALU_DEP_1)
	v_max_u32_e32 v17, 1, v16
	v_mov_b32_e32 v16, 0
.LBB27_34:                              ; =>This Inner Loop Header: Depth=1
	s_delay_alu instid0(VALU_DEP_2) | instskip(NEXT) | instid1(VALU_DEP_1)
	v_mul_hi_u32 v18, 0xbc8f1391, v17
	v_lshrrev_b32_e32 v18, 15, v18
	s_delay_alu instid0(VALU_DEP_1) | instskip(NEXT) | instid1(VALU_DEP_1)
	v_mul_u32_u24_e32 v19, 0xadc8, v18
	v_sub_nc_u32_e32 v17, v17, v19
	v_mul_u32_u24_e32 v18, 0xd47, v18
	s_delay_alu instid0(VALU_DEP_2) | instskip(NEXT) | instid1(VALU_DEP_2)
	v_mul_lo_u32 v17, 0xbc8f, v17
	v_xor_b32_e32 v19, 0x7fffffff, v18
	v_sub_nc_u32_e32 v20, 0, v18
	s_delay_alu instid0(VALU_DEP_3) | instskip(NEXT) | instid1(VALU_DEP_2)
	v_cmp_lt_u32_e32 vcc_lo, v17, v18
	v_cndmask_b32_e32 v18, v20, v19, vcc_lo
	s_delay_alu instid0(VALU_DEP_1) | instskip(NEXT) | instid1(VALU_DEP_1)
	v_add_nc_u32_e32 v17, v18, v17
	v_mul_hi_u32 v18, 0xbc8f1391, v17
	s_delay_alu instid0(VALU_DEP_1) | instskip(NEXT) | instid1(VALU_DEP_1)
	v_lshrrev_b32_e32 v18, 15, v18
	v_mul_u32_u24_e32 v19, 0xadc8, v18
	v_mul_u32_u24_e32 v18, 0xd47, v18
	s_delay_alu instid0(VALU_DEP_2) | instskip(NEXT) | instid1(VALU_DEP_2)
	v_sub_nc_u32_e32 v19, v17, v19
	v_xor_b32_e32 v20, 0x7fffffff, v18
	v_add_nc_u32_e32 v17, -1, v17
	s_delay_alu instid0(VALU_DEP_3) | instskip(SKIP_1) | instid1(VALU_DEP_2)
	v_mul_lo_u32 v19, 0xbc8f, v19
	v_sub_nc_u32_e32 v21, 0, v18
	v_cmp_lt_u32_e32 vcc_lo, v19, v18
	s_delay_alu instid0(VALU_DEP_2) | instskip(NEXT) | instid1(VALU_DEP_1)
	v_cndmask_b32_e32 v18, v21, v20, vcc_lo
	v_add_nc_u32_e32 v19, v18, v19
	s_delay_alu instid0(VALU_DEP_1) | instskip(NEXT) | instid1(VALU_DEP_1)
	v_mul_hi_u32 v18, 0xbc8f1391, v19
	v_lshrrev_b32_e32 v18, 15, v18
	s_delay_alu instid0(VALU_DEP_1) | instskip(SKIP_1) | instid1(VALU_DEP_2)
	v_mul_u32_u24_e32 v20, 0xadc8, v18
	v_mul_u32_u24_e32 v18, 0xd47, v18
	v_sub_nc_u32_e32 v20, v19, v20
	s_delay_alu instid0(VALU_DEP_2) | instskip(NEXT) | instid1(VALU_DEP_2)
	v_xor_b32_e32 v21, 0x7fffffff, v18
	v_mul_lo_u32 v20, 0xbc8f, v20
	v_sub_nc_u32_e32 v22, 0, v18
	s_delay_alu instid0(VALU_DEP_2) | instskip(NEXT) | instid1(VALU_DEP_2)
	v_cmp_lt_u32_e32 vcc_lo, v20, v18
	v_dual_cndmask_b32 v18, v22, v21, vcc_lo :: v_dual_add_f32 v22, 1.0, v16
	s_delay_alu instid0(VALU_DEP_1) | instskip(NEXT) | instid1(VALU_DEP_1)
	v_add_nc_u32_e32 v20, v18, v20
	v_mul_hi_u32 v18, 0xbc8f1391, v20
	s_delay_alu instid0(VALU_DEP_1) | instskip(NEXT) | instid1(VALU_DEP_1)
	v_lshrrev_b32_e32 v18, 15, v18
	v_mul_u32_u24_e32 v21, 0xadc8, v18
	v_mul_u32_u24_e32 v23, 0xd47, v18
	v_cvt_f32_u32_e32 v18, v17
	s_delay_alu instid0(VALU_DEP_3) | instskip(NEXT) | instid1(VALU_DEP_3)
	v_sub_nc_u32_e32 v21, v20, v21
	v_xor_b32_e32 v17, 0x7fffffff, v23
	v_dual_sub_nc_u32 v24, 0, v23 :: v_dual_add_nc_u32 v20, -1, v20
	s_delay_alu instid0(VALU_DEP_3) | instskip(NEXT) | instid1(VALU_DEP_2)
	v_mul_lo_u32 v21, 0xbc8f, v21
	v_cvt_f32_u32_e32 v20, v20
	s_delay_alu instid0(VALU_DEP_2) | instskip(NEXT) | instid1(VALU_DEP_4)
	v_cmp_lt_u32_e32 vcc_lo, v21, v23
	v_dual_add_nc_u32 v19, -1, v19 :: v_dual_cndmask_b32 v17, v24, v17, vcc_lo
	s_delay_alu instid0(VALU_DEP_1) | instskip(NEXT) | instid1(VALU_DEP_2)
	v_cvt_f32_u32_e32 v19, v19
	v_add_nc_u32_e32 v17, v17, v21
	s_delay_alu instid0(VALU_DEP_2) | instskip(NEXT) | instid1(VALU_DEP_1)
	v_pk_fma_f32 v[18:19], v[18:19], s[4:5], 0 op_sel_hi:[1,0,0]
	v_pk_mul_f32 v[18:19], v[18:19], v[18:19]
	s_delay_alu instid0(VALU_DEP_1) | instskip(NEXT) | instid1(VALU_DEP_1)
	v_dual_add_nc_u32 v21, -1, v17 :: v_dual_add_f32 v23, v18, v19
	v_cvt_f32_u32_e32 v21, v21
	s_delay_alu instid0(VALU_DEP_2) | instskip(NEXT) | instid1(VALU_DEP_2)
	v_cmp_gt_f32_e32 vcc_lo, 0xf800000, v23
	v_pk_fma_f32 v[18:19], v[20:21], s[4:5], 0 op_sel_hi:[1,0,0]
	s_add_co_i32 s5, s5, -2
	s_delay_alu instid0(SALU_CYCLE_1) | instskip(NEXT) | instid1(VALU_DEP_1)
	s_cmp_lg_u32 s5, 0
	v_pk_mul_f32 v[18:19], v[18:19], v[18:19]
	s_delay_alu instid0(VALU_DEP_1) | instskip(NEXT) | instid1(VALU_DEP_1)
	v_add_f32_e32 v18, v18, v19
	v_dual_mul_f32 v20, 0x4f800000, v23 :: v_dual_mul_f32 v21, 0x4f800000, v18
	s_delay_alu instid0(VALU_DEP_1) | instskip(SKIP_1) | instid1(VALU_DEP_2)
	v_cndmask_b32_e32 v20, v23, v20, vcc_lo
	v_cmp_gt_f32_e64 s2, 0xf800000, v18
	v_sqrt_f32_e32 v19, v20
	v_nop
	s_delay_alu instid0(TRANS32_DEP_1) | instskip(NEXT) | instid1(VALU_DEP_1)
	v_dual_add_nc_u32 v23, -1, v19 :: v_dual_cndmask_b32 v18, v18, v21, s2
	v_dual_add_nc_u32 v21, 1, v19 :: v_dual_fma_f32 v24, -v23, v19, v20
	s_delay_alu instid0(VALU_DEP_2) | instskip(NEXT) | instid1(VALU_DEP_1)
	v_sqrt_f32_e32 v25, v18
	v_fma_f32 v26, -v21, v19, v20
	s_delay_alu instid0(VALU_DEP_2)
	v_cmp_ge_f32_e64 s3, 0, v24
	s_delay_alu instid0(TRANS32_DEP_1) | instid1(VALU_DEP_1)
	v_dual_cndmask_b32 v19, v19, v23, s3 :: v_dual_add_nc_u32 v23, -1, v25
	s_delay_alu instid0(VALU_DEP_3) | instskip(NEXT) | instid1(VALU_DEP_1)
	v_cmp_lt_f32_e64 s3, 0, v26
	v_cndmask_b32_e64 v19, v19, v21, s3
	s_delay_alu instid0(VALU_DEP_3) | instskip(NEXT) | instid1(VALU_DEP_1)
	v_dual_add_nc_u32 v21, 1, v25 :: v_dual_fma_f32 v24, -v23, v25, v18
	v_fma_f32 v27, -v21, v25, v18
	s_delay_alu instid0(VALU_DEP_2) | instskip(NEXT) | instid1(VALU_DEP_1)
	v_cmp_ge_f32_e64 s3, 0, v24
	v_cndmask_b32_e64 v23, v25, v23, s3
	v_mul_f32_e32 v26, 0x37800000, v19
	s_delay_alu instid0(VALU_DEP_4) | instskip(NEXT) | instid1(VALU_DEP_1)
	v_cmp_lt_f32_e64 s3, 0, v27
	v_cndmask_b32_e64 v21, v23, v21, s3
	s_delay_alu instid0(VALU_DEP_3) | instskip(SKIP_1) | instid1(VALU_DEP_2)
	v_cndmask_b32_e32 v19, v19, v26, vcc_lo
	v_cmp_class_f32_e64 vcc_lo, v20, 0x260
	v_cndmask_b32_e32 v19, v19, v20, vcc_lo
	s_delay_alu instid0(VALU_DEP_1) | instskip(SKIP_3) | instid1(VALU_DEP_2)
	v_cmp_nge_f32_e32 vcc_lo, 1.0, v19
	v_cndmask_b32_e32 v16, v22, v16, vcc_lo
	v_mul_f32_e32 v20, 0x37800000, v21
	v_cmp_class_f32_e64 vcc_lo, v18, 0x260
	v_cndmask_b32_e64 v19, v21, v20, s2
	s_delay_alu instid0(VALU_DEP_1) | instskip(NEXT) | instid1(VALU_DEP_1)
	v_dual_add_f32 v20, 1.0, v16 :: v_dual_cndmask_b32 v18, v19, v18, vcc_lo
	v_cmp_nge_f32_e32 vcc_lo, 1.0, v18
	s_delay_alu instid0(VALU_DEP_2)
	v_cndmask_b32_e32 v16, v20, v16, vcc_lo
	s_cbranch_scc1 .LBB27_34
; %bb.35:
	v_add_nc_u32_e32 v17, 0x7fc56c16, v6
	s_movk_i32 s5, 0x2710
	s_brev_b32 s4, 12
	s_delay_alu instid0(VALU_DEP_1) | instskip(NEXT) | instid1(VALU_DEP_1)
	v_lshrrev_b32_e32 v18, 19, v17
	v_xor3_b32 v17, v17, v18, 0xc761c23c
	s_delay_alu instid0(VALU_DEP_1) | instskip(NEXT) | instid1(VALU_DEP_1)
	v_lshl_add_u32 v17, v17, 5, v17
	v_add_nc_u32_e32 v18, 0xe9f8cc1d, v17
	v_lshl_add_u32 v17, v17, 9, 0xaccf6200
	s_delay_alu instid0(VALU_DEP_1) | instskip(NEXT) | instid1(VALU_DEP_1)
	v_xor_b32_e32 v17, v18, v17
	v_lshlrev_b32_e32 v18, 3, v17
	s_delay_alu instid0(VALU_DEP_1) | instskip(NEXT) | instid1(VALU_DEP_1)
	v_add3_u32 v17, v17, v18, 0xfd7046c5
	v_lshrrev_b32_e32 v18, 16, v17
	s_delay_alu instid0(VALU_DEP_1) | instskip(NEXT) | instid1(VALU_DEP_1)
	v_xor3_b32 v17, v17, v18, 0xb55a4f09
	v_mul_hi_u32 v18, v17, 3
	s_delay_alu instid0(VALU_DEP_1) | instskip(NEXT) | instid1(VALU_DEP_1)
	v_sub_nc_u32_e32 v19, v17, v18
	v_lshrrev_b32_e32 v19, 1, v19
	s_delay_alu instid0(VALU_DEP_1) | instskip(NEXT) | instid1(VALU_DEP_1)
	v_add_nc_u32_e32 v18, v19, v18
	v_lshrrev_b32_e32 v18, 30, v18
	s_delay_alu instid0(VALU_DEP_1) | instskip(NEXT) | instid1(VALU_DEP_1)
	v_mul_lo_u32 v18, 0x7fffffff, v18
	v_sub_nc_u32_e32 v17, v17, v18
	s_delay_alu instid0(VALU_DEP_1)
	v_max_u32_e32 v18, 1, v17
	v_mov_b32_e32 v17, 0
.LBB27_36:                              ; =>This Inner Loop Header: Depth=1
	s_delay_alu instid0(VALU_DEP_2) | instskip(NEXT) | instid1(VALU_DEP_1)
	v_mul_hi_u32 v19, 0xbc8f1391, v18
	v_dual_add_f32 v24, 1.0, v17 :: v_dual_lshrrev_b32 v19, 15, v19
	s_delay_alu instid0(VALU_DEP_1) | instskip(NEXT) | instid1(VALU_DEP_1)
	v_mul_u32_u24_e32 v20, 0xadc8, v19
	v_sub_nc_u32_e32 v18, v18, v20
	v_mul_u32_u24_e32 v19, 0xd47, v19
	s_delay_alu instid0(VALU_DEP_2) | instskip(NEXT) | instid1(VALU_DEP_2)
	v_mul_lo_u32 v18, 0xbc8f, v18
	v_xor_b32_e32 v20, 0x7fffffff, v19
	v_sub_nc_u32_e32 v21, 0, v19
	s_delay_alu instid0(VALU_DEP_3) | instskip(NEXT) | instid1(VALU_DEP_2)
	v_cmp_lt_u32_e32 vcc_lo, v18, v19
	v_cndmask_b32_e32 v19, v21, v20, vcc_lo
	s_delay_alu instid0(VALU_DEP_1) | instskip(NEXT) | instid1(VALU_DEP_1)
	v_add_nc_u32_e32 v18, v19, v18
	v_mul_hi_u32 v19, 0xbc8f1391, v18
	s_delay_alu instid0(VALU_DEP_1) | instskip(NEXT) | instid1(VALU_DEP_1)
	v_lshrrev_b32_e32 v19, 15, v19
	v_mul_u32_u24_e32 v20, 0xadc8, v19
	v_mul_u32_u24_e32 v19, 0xd47, v19
	s_delay_alu instid0(VALU_DEP_2) | instskip(NEXT) | instid1(VALU_DEP_2)
	v_sub_nc_u32_e32 v20, v18, v20
	v_xor_b32_e32 v21, 0x7fffffff, v19
	v_add_nc_u32_e32 v18, -1, v18
	s_delay_alu instid0(VALU_DEP_3) | instskip(SKIP_1) | instid1(VALU_DEP_2)
	v_mul_lo_u32 v20, 0xbc8f, v20
	v_sub_nc_u32_e32 v22, 0, v19
	v_cmp_lt_u32_e32 vcc_lo, v20, v19
	s_delay_alu instid0(VALU_DEP_2) | instskip(NEXT) | instid1(VALU_DEP_1)
	v_cndmask_b32_e32 v19, v22, v21, vcc_lo
	v_add_nc_u32_e32 v19, v19, v20
	s_delay_alu instid0(VALU_DEP_1) | instskip(NEXT) | instid1(VALU_DEP_1)
	v_mul_hi_u32 v20, 0xbc8f1391, v19
	v_lshrrev_b32_e32 v20, 15, v20
	s_delay_alu instid0(VALU_DEP_1) | instskip(SKIP_1) | instid1(VALU_DEP_2)
	v_mul_u32_u24_e32 v21, 0xadc8, v20
	v_mul_u32_u24_e32 v20, 0xd47, v20
	v_sub_nc_u32_e32 v21, v19, v21
	s_delay_alu instid0(VALU_DEP_2) | instskip(SKIP_1) | instid1(VALU_DEP_3)
	v_xor_b32_e32 v22, 0x7fffffff, v20
	v_dual_sub_nc_u32 v23, 0, v20 :: v_dual_add_nc_u32 v19, -1, v19
	v_mul_lo_u32 v21, 0xbc8f, v21
	s_delay_alu instid0(VALU_DEP_1) | instskip(NEXT) | instid1(VALU_DEP_3)
	v_cmp_lt_u32_e32 vcc_lo, v21, v20
	v_cndmask_b32_e32 v20, v23, v22, vcc_lo
	s_delay_alu instid0(VALU_DEP_1) | instskip(NEXT) | instid1(VALU_DEP_1)
	v_add_nc_u32_e32 v22, v20, v21
	v_mul_hi_u32 v20, 0xbc8f1391, v22
	s_delay_alu instid0(VALU_DEP_1) | instskip(NEXT) | instid1(VALU_DEP_1)
	v_lshrrev_b32_e32 v20, 15, v20
	v_mul_u32_u24_e32 v21, 0xadc8, v20
	s_delay_alu instid0(VALU_DEP_1) | instskip(NEXT) | instid1(VALU_DEP_1)
	v_sub_nc_u32_e32 v21, v22, v21
	v_mul_lo_u32 v23, 0xbc8f, v21
	v_mul_u32_u24_e32 v21, 0xd47, v20
	v_cvt_f32_u32_e32 v20, v18
	s_delay_alu instid0(VALU_DEP_2) | instskip(SKIP_4) | instid1(VALU_DEP_2)
	v_xor_b32_e32 v18, 0x7fffffff, v21
	v_sub_nc_u32_e32 v25, 0, v21
	v_cmp_lt_u32_e32 vcc_lo, v23, v21
	v_cvt_f32_u32_e32 v21, v19
	v_add_nc_u32_e32 v19, -1, v22
	v_pk_fma_f32 v[20:21], v[20:21], s[4:5], 0 op_sel_hi:[1,0,0]
	s_delay_alu instid0(VALU_DEP_2) | instskip(NEXT) | instid1(VALU_DEP_2)
	v_cvt_f32_u32_e32 v22, v19
	v_pk_mul_f32 v[20:21], v[20:21], v[20:21]
	s_delay_alu instid0(VALU_DEP_1) | instskip(NEXT) | instid1(VALU_DEP_1)
	v_dual_cndmask_b32 v18, v25, v18 :: v_dual_add_f32 v19, v20, v21
	v_add_nc_u32_e32 v18, v18, v23
	s_delay_alu instid0(VALU_DEP_2) | instskip(NEXT) | instid1(VALU_DEP_2)
	v_cmp_gt_f32_e32 vcc_lo, 0xf800000, v19
	v_add_nc_u32_e32 v23, -1, v18
	s_delay_alu instid0(VALU_DEP_1) | instskip(NEXT) | instid1(VALU_DEP_1)
	v_cvt_f32_u32_e32 v23, v23
	v_pk_fma_f32 v[20:21], v[22:23], s[4:5], 0 op_sel_hi:[1,0,0]
	v_mul_f32_e32 v22, 0x4f800000, v19
	s_add_co_i32 s5, s5, -2
	s_delay_alu instid0(SALU_CYCLE_1) | instskip(NEXT) | instid1(VALU_DEP_2)
	s_cmp_lg_u32 s5, 0
	v_pk_mul_f32 v[20:21], v[20:21], v[20:21]
	s_delay_alu instid0(VALU_DEP_1) | instskip(NEXT) | instid1(VALU_DEP_1)
	v_dual_add_f32 v20, v20, v21 :: v_dual_cndmask_b32 v19, v19, v22
	v_mul_f32_e32 v22, 0x4f800000, v20
	s_delay_alu instid0(VALU_DEP_2)
	v_sqrt_f32_e32 v21, v19
	v_cmp_gt_f32_e64 s2, 0xf800000, v20
	s_delay_alu instid0(TRANS32_DEP_1) | instid1(VALU_DEP_1)
	v_dual_cndmask_b32 v20, v20, v22, s2 :: v_dual_add_nc_u32 v23, -1, v21
	v_add_nc_u32_e32 v22, 1, v21
	s_delay_alu instid0(VALU_DEP_2) | instskip(NEXT) | instid1(VALU_DEP_2)
	v_sqrt_f32_e32 v26, v20
	v_fma_f32 v25, -v23, v21, v19
	s_delay_alu instid0(VALU_DEP_1) | instskip(NEXT) | instid1(VALU_DEP_1)
	v_cmp_ge_f32_e64 s3, 0, v25
	v_dual_fma_f32 v27, -v22, v21, v19 :: v_dual_cndmask_b32 v21, v21, v23, s3
	s_delay_alu instid0(VALU_DEP_1) | instskip(NEXT) | instid1(TRANS32_DEP_1)
	v_cmp_lt_f32_e64 s3, 0, v27
	v_add_nc_u32_e32 v23, -1, v26
	s_delay_alu instid0(VALU_DEP_2) | instskip(NEXT) | instid1(VALU_DEP_2)
	v_cndmask_b32_e64 v21, v21, v22, s3
	v_dual_add_nc_u32 v22, 1, v26 :: v_dual_fma_f32 v25, -v23, v26, v20
	s_delay_alu instid0(VALU_DEP_1) | instskip(NEXT) | instid1(VALU_DEP_2)
	v_fma_f32 v28, -v22, v26, v20
	v_cmp_ge_f32_e64 s3, 0, v25
	s_delay_alu instid0(VALU_DEP_1) | instskip(SKIP_1) | instid1(VALU_DEP_4)
	v_cndmask_b32_e64 v23, v26, v23, s3
	v_mul_f32_e32 v27, 0x37800000, v21
	v_cmp_lt_f32_e64 s3, 0, v28
	s_delay_alu instid0(VALU_DEP_1) | instskip(SKIP_1) | instid1(VALU_DEP_2)
	v_dual_cndmask_b32 v21, v21, v27, vcc_lo :: v_dual_cndmask_b32 v22, v23, v22, s3
	v_cmp_class_f32_e64 vcc_lo, v19, 0x260
	v_cndmask_b32_e32 v19, v21, v19, vcc_lo
	s_delay_alu instid0(VALU_DEP_3) | instskip(NEXT) | instid1(VALU_DEP_2)
	v_mul_f32_e32 v21, 0x37800000, v22
	v_cmp_nge_f32_e32 vcc_lo, 1.0, v19
	s_delay_alu instid0(VALU_DEP_2) | instskip(SKIP_2) | instid1(VALU_DEP_1)
	v_cndmask_b32_e64 v19, v22, v21, s2
	v_cndmask_b32_e32 v17, v24, v17, vcc_lo
	v_cmp_class_f32_e64 vcc_lo, v20, 0x260
	v_dual_add_f32 v21, 1.0, v17 :: v_dual_cndmask_b32 v19, v19, v20, vcc_lo
	s_delay_alu instid0(VALU_DEP_1) | instskip(NEXT) | instid1(VALU_DEP_2)
	v_cmp_nge_f32_e32 vcc_lo, 1.0, v19
	v_cndmask_b32_e32 v17, v21, v17, vcc_lo
	s_cbranch_scc1 .LBB27_36
; %bb.37:
	v_add_nc_u32_e32 v18, 0x7fd56d16, v6
	s_movk_i32 s5, 0x2710
	s_brev_b32 s4, 12
	s_delay_alu instid0(VALU_DEP_1) | instskip(NEXT) | instid1(VALU_DEP_1)
	v_lshrrev_b32_e32 v19, 19, v18
	v_xor3_b32 v18, v18, v19, 0xc761c23c
	s_delay_alu instid0(VALU_DEP_1) | instskip(NEXT) | instid1(VALU_DEP_1)
	v_lshl_add_u32 v18, v18, 5, v18
	v_add_nc_u32_e32 v19, 0xe9f8cc1d, v18
	v_lshl_add_u32 v18, v18, 9, 0xaccf6200
	s_delay_alu instid0(VALU_DEP_1) | instskip(NEXT) | instid1(VALU_DEP_1)
	v_xor_b32_e32 v18, v19, v18
	v_lshlrev_b32_e32 v19, 3, v18
	s_delay_alu instid0(VALU_DEP_1) | instskip(NEXT) | instid1(VALU_DEP_1)
	v_add3_u32 v18, v18, v19, 0xfd7046c5
	v_lshrrev_b32_e32 v19, 16, v18
	s_delay_alu instid0(VALU_DEP_1) | instskip(NEXT) | instid1(VALU_DEP_1)
	v_xor3_b32 v18, v18, v19, 0xb55a4f09
	v_mul_hi_u32 v19, v18, 3
	s_delay_alu instid0(VALU_DEP_1) | instskip(NEXT) | instid1(VALU_DEP_1)
	v_sub_nc_u32_e32 v20, v18, v19
	v_lshrrev_b32_e32 v20, 1, v20
	s_delay_alu instid0(VALU_DEP_1) | instskip(NEXT) | instid1(VALU_DEP_1)
	v_add_nc_u32_e32 v19, v20, v19
	v_lshrrev_b32_e32 v19, 30, v19
	s_delay_alu instid0(VALU_DEP_1) | instskip(NEXT) | instid1(VALU_DEP_1)
	v_mul_lo_u32 v19, 0x7fffffff, v19
	v_sub_nc_u32_e32 v18, v18, v19
	s_delay_alu instid0(VALU_DEP_1)
	v_max_u32_e32 v19, 1, v18
	v_mov_b32_e32 v18, 0
.LBB27_38:                              ; =>This Inner Loop Header: Depth=1
	s_delay_alu instid0(VALU_DEP_2) | instskip(NEXT) | instid1(VALU_DEP_1)
	v_mul_hi_u32 v20, 0xbc8f1391, v19
	v_lshrrev_b32_e32 v20, 15, v20
	s_delay_alu instid0(VALU_DEP_1) | instskip(NEXT) | instid1(VALU_DEP_1)
	v_mul_u32_u24_e32 v21, 0xadc8, v20
	v_sub_nc_u32_e32 v19, v19, v21
	v_mul_u32_u24_e32 v20, 0xd47, v20
	s_delay_alu instid0(VALU_DEP_2) | instskip(NEXT) | instid1(VALU_DEP_2)
	v_mul_lo_u32 v19, 0xbc8f, v19
	v_xor_b32_e32 v21, 0x7fffffff, v20
	v_sub_nc_u32_e32 v22, 0, v20
	s_delay_alu instid0(VALU_DEP_3) | instskip(NEXT) | instid1(VALU_DEP_2)
	v_cmp_lt_u32_e32 vcc_lo, v19, v20
	v_cndmask_b32_e32 v20, v22, v21, vcc_lo
	s_delay_alu instid0(VALU_DEP_1) | instskip(NEXT) | instid1(VALU_DEP_1)
	v_add_nc_u32_e32 v19, v20, v19
	v_mul_hi_u32 v20, 0xbc8f1391, v19
	s_delay_alu instid0(VALU_DEP_1) | instskip(NEXT) | instid1(VALU_DEP_1)
	v_lshrrev_b32_e32 v20, 15, v20
	v_mul_u32_u24_e32 v21, 0xadc8, v20
	v_mul_u32_u24_e32 v20, 0xd47, v20
	s_delay_alu instid0(VALU_DEP_2) | instskip(NEXT) | instid1(VALU_DEP_2)
	v_sub_nc_u32_e32 v21, v19, v21
	v_xor_b32_e32 v22, 0x7fffffff, v20
	v_add_nc_u32_e32 v19, -1, v19
	s_delay_alu instid0(VALU_DEP_3) | instskip(SKIP_1) | instid1(VALU_DEP_2)
	v_mul_lo_u32 v21, 0xbc8f, v21
	v_sub_nc_u32_e32 v23, 0, v20
	v_cmp_lt_u32_e32 vcc_lo, v21, v20
	s_delay_alu instid0(VALU_DEP_2) | instskip(NEXT) | instid1(VALU_DEP_1)
	v_cndmask_b32_e32 v20, v23, v22, vcc_lo
	v_add_nc_u32_e32 v21, v20, v21
	s_delay_alu instid0(VALU_DEP_1) | instskip(NEXT) | instid1(VALU_DEP_1)
	v_mul_hi_u32 v20, 0xbc8f1391, v21
	v_lshrrev_b32_e32 v20, 15, v20
	s_delay_alu instid0(VALU_DEP_1) | instskip(SKIP_1) | instid1(VALU_DEP_2)
	v_mul_u32_u24_e32 v22, 0xadc8, v20
	v_mul_u32_u24_e32 v20, 0xd47, v20
	v_sub_nc_u32_e32 v22, v21, v22
	s_delay_alu instid0(VALU_DEP_2) | instskip(NEXT) | instid1(VALU_DEP_2)
	v_xor_b32_e32 v23, 0x7fffffff, v20
	v_mul_lo_u32 v22, 0xbc8f, v22
	v_sub_nc_u32_e32 v24, 0, v20
	s_delay_alu instid0(VALU_DEP_2) | instskip(NEXT) | instid1(VALU_DEP_2)
	v_cmp_lt_u32_e32 vcc_lo, v22, v20
	v_dual_cndmask_b32 v20, v24, v23, vcc_lo :: v_dual_add_f32 v24, 1.0, v18
	s_delay_alu instid0(VALU_DEP_1) | instskip(NEXT) | instid1(VALU_DEP_1)
	v_add_nc_u32_e32 v22, v20, v22
	v_mul_hi_u32 v20, 0xbc8f1391, v22
	s_delay_alu instid0(VALU_DEP_1) | instskip(NEXT) | instid1(VALU_DEP_1)
	v_lshrrev_b32_e32 v20, 15, v20
	v_mul_u32_u24_e32 v23, 0xadc8, v20
	v_mul_u32_u24_e32 v25, 0xd47, v20
	v_cvt_f32_u32_e32 v20, v19
	s_delay_alu instid0(VALU_DEP_3) | instskip(NEXT) | instid1(VALU_DEP_3)
	v_sub_nc_u32_e32 v23, v22, v23
	v_xor_b32_e32 v19, 0x7fffffff, v25
	v_dual_sub_nc_u32 v26, 0, v25 :: v_dual_add_nc_u32 v22, -1, v22
	s_delay_alu instid0(VALU_DEP_3) | instskip(NEXT) | instid1(VALU_DEP_2)
	v_mul_lo_u32 v23, 0xbc8f, v23
	v_cvt_f32_u32_e32 v22, v22
	s_delay_alu instid0(VALU_DEP_2) | instskip(NEXT) | instid1(VALU_DEP_4)
	v_cmp_lt_u32_e32 vcc_lo, v23, v25
	v_dual_add_nc_u32 v21, -1, v21 :: v_dual_cndmask_b32 v19, v26, v19, vcc_lo
	s_delay_alu instid0(VALU_DEP_1) | instskip(NEXT) | instid1(VALU_DEP_2)
	v_cvt_f32_u32_e32 v21, v21
	v_add_nc_u32_e32 v19, v19, v23
	s_delay_alu instid0(VALU_DEP_2) | instskip(NEXT) | instid1(VALU_DEP_1)
	v_pk_fma_f32 v[20:21], v[20:21], s[4:5], 0 op_sel_hi:[1,0,0]
	v_pk_mul_f32 v[20:21], v[20:21], v[20:21]
	s_delay_alu instid0(VALU_DEP_1) | instskip(NEXT) | instid1(VALU_DEP_1)
	v_dual_add_nc_u32 v23, -1, v19 :: v_dual_add_f32 v25, v20, v21
	v_cvt_f32_u32_e32 v23, v23
	s_delay_alu instid0(VALU_DEP_2) | instskip(NEXT) | instid1(VALU_DEP_2)
	v_cmp_gt_f32_e32 vcc_lo, 0xf800000, v25
	v_pk_fma_f32 v[20:21], v[22:23], s[4:5], 0 op_sel_hi:[1,0,0]
	s_add_co_i32 s5, s5, -2
	s_delay_alu instid0(SALU_CYCLE_1) | instskip(NEXT) | instid1(VALU_DEP_1)
	s_cmp_lg_u32 s5, 0
	v_pk_mul_f32 v[20:21], v[20:21], v[20:21]
	s_delay_alu instid0(VALU_DEP_1) | instskip(NEXT) | instid1(VALU_DEP_1)
	v_add_f32_e32 v20, v20, v21
	v_dual_mul_f32 v22, 0x4f800000, v25 :: v_dual_mul_f32 v23, 0x4f800000, v20
	s_delay_alu instid0(VALU_DEP_1) | instskip(SKIP_1) | instid1(VALU_DEP_2)
	v_cndmask_b32_e32 v22, v25, v22, vcc_lo
	v_cmp_gt_f32_e64 s2, 0xf800000, v20
	v_sqrt_f32_e32 v21, v22
	v_nop
	s_delay_alu instid0(TRANS32_DEP_1) | instskip(NEXT) | instid1(VALU_DEP_1)
	v_dual_add_nc_u32 v25, -1, v21 :: v_dual_cndmask_b32 v20, v20, v23, s2
	v_dual_add_nc_u32 v23, 1, v21 :: v_dual_fma_f32 v26, -v25, v21, v22
	s_delay_alu instid0(VALU_DEP_2) | instskip(NEXT) | instid1(VALU_DEP_1)
	v_sqrt_f32_e32 v27, v20
	v_fma_f32 v28, -v23, v21, v22
	s_delay_alu instid0(VALU_DEP_2)
	v_cmp_ge_f32_e64 s3, 0, v26
	s_delay_alu instid0(TRANS32_DEP_1) | instid1(VALU_DEP_1)
	v_dual_cndmask_b32 v21, v21, v25, s3 :: v_dual_add_nc_u32 v25, -1, v27
	s_delay_alu instid0(VALU_DEP_3) | instskip(NEXT) | instid1(VALU_DEP_1)
	v_cmp_lt_f32_e64 s3, 0, v28
	v_cndmask_b32_e64 v21, v21, v23, s3
	s_delay_alu instid0(VALU_DEP_3) | instskip(NEXT) | instid1(VALU_DEP_1)
	v_dual_add_nc_u32 v23, 1, v27 :: v_dual_fma_f32 v26, -v25, v27, v20
	v_fma_f32 v29, -v23, v27, v20
	s_delay_alu instid0(VALU_DEP_2) | instskip(NEXT) | instid1(VALU_DEP_1)
	v_cmp_ge_f32_e64 s3, 0, v26
	v_cndmask_b32_e64 v25, v27, v25, s3
	v_mul_f32_e32 v28, 0x37800000, v21
	s_delay_alu instid0(VALU_DEP_4) | instskip(NEXT) | instid1(VALU_DEP_1)
	v_cmp_lt_f32_e64 s3, 0, v29
	v_cndmask_b32_e64 v23, v25, v23, s3
	s_delay_alu instid0(VALU_DEP_3) | instskip(SKIP_1) | instid1(VALU_DEP_2)
	v_cndmask_b32_e32 v21, v21, v28, vcc_lo
	v_cmp_class_f32_e64 vcc_lo, v22, 0x260
	v_cndmask_b32_e32 v21, v21, v22, vcc_lo
	s_delay_alu instid0(VALU_DEP_1) | instskip(SKIP_3) | instid1(VALU_DEP_2)
	v_cmp_nge_f32_e32 vcc_lo, 1.0, v21
	v_cndmask_b32_e32 v18, v24, v18, vcc_lo
	v_mul_f32_e32 v22, 0x37800000, v23
	v_cmp_class_f32_e64 vcc_lo, v20, 0x260
	v_cndmask_b32_e64 v21, v23, v22, s2
	s_delay_alu instid0(VALU_DEP_1) | instskip(NEXT) | instid1(VALU_DEP_1)
	v_dual_add_f32 v22, 1.0, v18 :: v_dual_cndmask_b32 v20, v21, v20, vcc_lo
	v_cmp_nge_f32_e32 vcc_lo, 1.0, v20
	s_delay_alu instid0(VALU_DEP_2)
	v_cndmask_b32_e32 v18, v22, v18, vcc_lo
	s_cbranch_scc1 .LBB27_38
; %bb.39:
	v_add_nc_u32_e32 v19, 0x7fe56e16, v6
	s_movk_i32 s5, 0x2710
	s_brev_b32 s4, 12
	s_delay_alu instid0(VALU_DEP_1) | instskip(NEXT) | instid1(VALU_DEP_1)
	v_lshrrev_b32_e32 v20, 19, v19
	v_xor3_b32 v19, v19, v20, 0xc761c23c
	s_delay_alu instid0(VALU_DEP_1) | instskip(NEXT) | instid1(VALU_DEP_1)
	v_lshl_add_u32 v19, v19, 5, v19
	v_add_nc_u32_e32 v20, 0xe9f8cc1d, v19
	v_lshl_add_u32 v19, v19, 9, 0xaccf6200
	s_delay_alu instid0(VALU_DEP_1) | instskip(NEXT) | instid1(VALU_DEP_1)
	v_xor_b32_e32 v19, v20, v19
	v_lshlrev_b32_e32 v20, 3, v19
	s_delay_alu instid0(VALU_DEP_1) | instskip(NEXT) | instid1(VALU_DEP_1)
	v_add3_u32 v19, v19, v20, 0xfd7046c5
	v_lshrrev_b32_e32 v20, 16, v19
	s_delay_alu instid0(VALU_DEP_1) | instskip(NEXT) | instid1(VALU_DEP_1)
	v_xor3_b32 v19, v19, v20, 0xb55a4f09
	v_mul_hi_u32 v20, v19, 3
	s_delay_alu instid0(VALU_DEP_1) | instskip(NEXT) | instid1(VALU_DEP_1)
	v_sub_nc_u32_e32 v21, v19, v20
	v_lshrrev_b32_e32 v21, 1, v21
	s_delay_alu instid0(VALU_DEP_1) | instskip(NEXT) | instid1(VALU_DEP_1)
	v_add_nc_u32_e32 v20, v21, v20
	v_lshrrev_b32_e32 v20, 30, v20
	s_delay_alu instid0(VALU_DEP_1) | instskip(NEXT) | instid1(VALU_DEP_1)
	v_mul_lo_u32 v20, 0x7fffffff, v20
	v_sub_nc_u32_e32 v19, v19, v20
	s_delay_alu instid0(VALU_DEP_1)
	v_max_u32_e32 v20, 1, v19
	v_mov_b32_e32 v19, 0
.LBB27_40:                              ; =>This Inner Loop Header: Depth=1
	s_delay_alu instid0(VALU_DEP_2) | instskip(NEXT) | instid1(VALU_DEP_1)
	v_mul_hi_u32 v21, 0xbc8f1391, v20
	v_dual_add_f32 v26, 1.0, v19 :: v_dual_lshrrev_b32 v21, 15, v21
	s_delay_alu instid0(VALU_DEP_1) | instskip(NEXT) | instid1(VALU_DEP_1)
	v_mul_u32_u24_e32 v22, 0xadc8, v21
	v_sub_nc_u32_e32 v20, v20, v22
	v_mul_u32_u24_e32 v21, 0xd47, v21
	s_delay_alu instid0(VALU_DEP_2) | instskip(NEXT) | instid1(VALU_DEP_2)
	v_mul_lo_u32 v20, 0xbc8f, v20
	v_xor_b32_e32 v22, 0x7fffffff, v21
	v_sub_nc_u32_e32 v23, 0, v21
	s_delay_alu instid0(VALU_DEP_3) | instskip(NEXT) | instid1(VALU_DEP_2)
	v_cmp_lt_u32_e32 vcc_lo, v20, v21
	v_cndmask_b32_e32 v21, v23, v22, vcc_lo
	s_delay_alu instid0(VALU_DEP_1) | instskip(NEXT) | instid1(VALU_DEP_1)
	v_add_nc_u32_e32 v20, v21, v20
	v_mul_hi_u32 v21, 0xbc8f1391, v20
	s_delay_alu instid0(VALU_DEP_1) | instskip(NEXT) | instid1(VALU_DEP_1)
	v_lshrrev_b32_e32 v21, 15, v21
	v_mul_u32_u24_e32 v22, 0xadc8, v21
	v_mul_u32_u24_e32 v21, 0xd47, v21
	s_delay_alu instid0(VALU_DEP_2) | instskip(NEXT) | instid1(VALU_DEP_2)
	v_sub_nc_u32_e32 v22, v20, v22
	v_xor_b32_e32 v23, 0x7fffffff, v21
	v_add_nc_u32_e32 v20, -1, v20
	s_delay_alu instid0(VALU_DEP_3) | instskip(SKIP_1) | instid1(VALU_DEP_2)
	v_mul_lo_u32 v22, 0xbc8f, v22
	v_sub_nc_u32_e32 v24, 0, v21
	v_cmp_lt_u32_e32 vcc_lo, v22, v21
	s_delay_alu instid0(VALU_DEP_2) | instskip(NEXT) | instid1(VALU_DEP_1)
	v_cndmask_b32_e32 v21, v24, v23, vcc_lo
	v_add_nc_u32_e32 v21, v21, v22
	s_delay_alu instid0(VALU_DEP_1) | instskip(NEXT) | instid1(VALU_DEP_1)
	v_mul_hi_u32 v22, 0xbc8f1391, v21
	v_lshrrev_b32_e32 v22, 15, v22
	s_delay_alu instid0(VALU_DEP_1) | instskip(SKIP_1) | instid1(VALU_DEP_2)
	v_mul_u32_u24_e32 v23, 0xadc8, v22
	v_mul_u32_u24_e32 v22, 0xd47, v22
	v_sub_nc_u32_e32 v23, v21, v23
	s_delay_alu instid0(VALU_DEP_2) | instskip(SKIP_1) | instid1(VALU_DEP_3)
	v_xor_b32_e32 v24, 0x7fffffff, v22
	v_dual_sub_nc_u32 v25, 0, v22 :: v_dual_add_nc_u32 v21, -1, v21
	v_mul_lo_u32 v23, 0xbc8f, v23
	s_delay_alu instid0(VALU_DEP_1) | instskip(NEXT) | instid1(VALU_DEP_3)
	v_cmp_lt_u32_e32 vcc_lo, v23, v22
	v_cndmask_b32_e32 v22, v25, v24, vcc_lo
	s_delay_alu instid0(VALU_DEP_1) | instskip(NEXT) | instid1(VALU_DEP_1)
	v_add_nc_u32_e32 v24, v22, v23
	v_mul_hi_u32 v22, 0xbc8f1391, v24
	s_delay_alu instid0(VALU_DEP_1) | instskip(NEXT) | instid1(VALU_DEP_1)
	v_lshrrev_b32_e32 v22, 15, v22
	v_mul_u32_u24_e32 v23, 0xadc8, v22
	s_delay_alu instid0(VALU_DEP_1) | instskip(NEXT) | instid1(VALU_DEP_1)
	v_sub_nc_u32_e32 v23, v24, v23
	v_mul_lo_u32 v25, 0xbc8f, v23
	v_mul_u32_u24_e32 v23, 0xd47, v22
	v_cvt_f32_u32_e32 v22, v20
	s_delay_alu instid0(VALU_DEP_2) | instskip(SKIP_4) | instid1(VALU_DEP_2)
	v_xor_b32_e32 v20, 0x7fffffff, v23
	v_sub_nc_u32_e32 v27, 0, v23
	v_cmp_lt_u32_e32 vcc_lo, v25, v23
	v_cvt_f32_u32_e32 v23, v21
	v_add_nc_u32_e32 v21, -1, v24
	v_pk_fma_f32 v[22:23], v[22:23], s[4:5], 0 op_sel_hi:[1,0,0]
	s_delay_alu instid0(VALU_DEP_2) | instskip(NEXT) | instid1(VALU_DEP_2)
	v_cvt_f32_u32_e32 v24, v21
	v_pk_mul_f32 v[22:23], v[22:23], v[22:23]
	s_delay_alu instid0(VALU_DEP_1) | instskip(NEXT) | instid1(VALU_DEP_1)
	v_dual_cndmask_b32 v20, v27, v20 :: v_dual_add_f32 v21, v22, v23
	v_add_nc_u32_e32 v20, v20, v25
	s_delay_alu instid0(VALU_DEP_2) | instskip(NEXT) | instid1(VALU_DEP_2)
	v_cmp_gt_f32_e32 vcc_lo, 0xf800000, v21
	v_add_nc_u32_e32 v25, -1, v20
	s_delay_alu instid0(VALU_DEP_1) | instskip(NEXT) | instid1(VALU_DEP_1)
	v_cvt_f32_u32_e32 v25, v25
	v_pk_fma_f32 v[22:23], v[24:25], s[4:5], 0 op_sel_hi:[1,0,0]
	v_mul_f32_e32 v24, 0x4f800000, v21
	s_add_co_i32 s5, s5, -2
	s_delay_alu instid0(SALU_CYCLE_1) | instskip(NEXT) | instid1(VALU_DEP_2)
	s_cmp_lg_u32 s5, 0
	v_pk_mul_f32 v[22:23], v[22:23], v[22:23]
	s_delay_alu instid0(VALU_DEP_1) | instskip(NEXT) | instid1(VALU_DEP_1)
	v_dual_add_f32 v22, v22, v23 :: v_dual_cndmask_b32 v21, v21, v24
	v_mul_f32_e32 v24, 0x4f800000, v22
	s_delay_alu instid0(VALU_DEP_2)
	v_sqrt_f32_e32 v23, v21
	v_cmp_gt_f32_e64 s2, 0xf800000, v22
	s_delay_alu instid0(TRANS32_DEP_1) | instid1(VALU_DEP_1)
	v_dual_cndmask_b32 v22, v22, v24, s2 :: v_dual_add_nc_u32 v25, -1, v23
	v_add_nc_u32_e32 v24, 1, v23
	s_delay_alu instid0(VALU_DEP_2) | instskip(NEXT) | instid1(VALU_DEP_2)
	v_sqrt_f32_e32 v28, v22
	v_fma_f32 v27, -v25, v23, v21
	s_delay_alu instid0(VALU_DEP_1) | instskip(NEXT) | instid1(VALU_DEP_1)
	v_cmp_ge_f32_e64 s3, 0, v27
	v_dual_fma_f32 v29, -v24, v23, v21 :: v_dual_cndmask_b32 v23, v23, v25, s3
	s_delay_alu instid0(VALU_DEP_1) | instskip(NEXT) | instid1(TRANS32_DEP_1)
	v_cmp_lt_f32_e64 s3, 0, v29
	v_add_nc_u32_e32 v25, -1, v28
	s_delay_alu instid0(VALU_DEP_2) | instskip(NEXT) | instid1(VALU_DEP_2)
	v_cndmask_b32_e64 v23, v23, v24, s3
	v_dual_add_nc_u32 v24, 1, v28 :: v_dual_fma_f32 v27, -v25, v28, v22
	s_delay_alu instid0(VALU_DEP_1) | instskip(NEXT) | instid1(VALU_DEP_2)
	v_fma_f32 v30, -v24, v28, v22
	v_cmp_ge_f32_e64 s3, 0, v27
	s_delay_alu instid0(VALU_DEP_1) | instskip(SKIP_1) | instid1(VALU_DEP_4)
	v_cndmask_b32_e64 v25, v28, v25, s3
	v_mul_f32_e32 v29, 0x37800000, v23
	v_cmp_lt_f32_e64 s3, 0, v30
	s_delay_alu instid0(VALU_DEP_1) | instskip(SKIP_1) | instid1(VALU_DEP_2)
	v_dual_cndmask_b32 v23, v23, v29, vcc_lo :: v_dual_cndmask_b32 v24, v25, v24, s3
	v_cmp_class_f32_e64 vcc_lo, v21, 0x260
	v_cndmask_b32_e32 v21, v23, v21, vcc_lo
	s_delay_alu instid0(VALU_DEP_3) | instskip(NEXT) | instid1(VALU_DEP_2)
	v_mul_f32_e32 v23, 0x37800000, v24
	v_cmp_nge_f32_e32 vcc_lo, 1.0, v21
	s_delay_alu instid0(VALU_DEP_2) | instskip(SKIP_2) | instid1(VALU_DEP_1)
	v_cndmask_b32_e64 v21, v24, v23, s2
	v_cndmask_b32_e32 v19, v26, v19, vcc_lo
	v_cmp_class_f32_e64 vcc_lo, v22, 0x260
	v_dual_add_f32 v23, 1.0, v19 :: v_dual_cndmask_b32 v21, v21, v22, vcc_lo
	s_delay_alu instid0(VALU_DEP_1) | instskip(NEXT) | instid1(VALU_DEP_2)
	v_cmp_nge_f32_e32 vcc_lo, 1.0, v21
	v_cndmask_b32_e32 v19, v23, v19, vcc_lo
	s_cbranch_scc1 .LBB27_40
; %bb.41:
	v_add_nc_u32_e32 v20, 0x7ff56f16, v6
	s_movk_i32 s5, 0x2710
	s_brev_b32 s4, 12
	s_delay_alu instid0(VALU_DEP_1) | instskip(NEXT) | instid1(VALU_DEP_1)
	v_lshrrev_b32_e32 v21, 19, v20
	v_xor3_b32 v20, v20, v21, 0xc761c23c
	s_delay_alu instid0(VALU_DEP_1) | instskip(NEXT) | instid1(VALU_DEP_1)
	v_lshl_add_u32 v20, v20, 5, v20
	v_add_nc_u32_e32 v21, 0xe9f8cc1d, v20
	v_lshl_add_u32 v20, v20, 9, 0xaccf6200
	s_delay_alu instid0(VALU_DEP_1) | instskip(NEXT) | instid1(VALU_DEP_1)
	v_xor_b32_e32 v20, v21, v20
	v_lshlrev_b32_e32 v21, 3, v20
	s_delay_alu instid0(VALU_DEP_1) | instskip(NEXT) | instid1(VALU_DEP_1)
	v_add3_u32 v20, v20, v21, 0xfd7046c5
	v_lshrrev_b32_e32 v21, 16, v20
	s_delay_alu instid0(VALU_DEP_1) | instskip(NEXT) | instid1(VALU_DEP_1)
	v_xor3_b32 v20, v20, v21, 0xb55a4f09
	v_mul_hi_u32 v21, v20, 3
	s_delay_alu instid0(VALU_DEP_1) | instskip(NEXT) | instid1(VALU_DEP_1)
	v_sub_nc_u32_e32 v22, v20, v21
	v_lshrrev_b32_e32 v22, 1, v22
	s_delay_alu instid0(VALU_DEP_1) | instskip(NEXT) | instid1(VALU_DEP_1)
	v_add_nc_u32_e32 v21, v22, v21
	v_lshrrev_b32_e32 v21, 30, v21
	s_delay_alu instid0(VALU_DEP_1) | instskip(NEXT) | instid1(VALU_DEP_1)
	v_mul_lo_u32 v21, 0x7fffffff, v21
	v_sub_nc_u32_e32 v20, v20, v21
	s_delay_alu instid0(VALU_DEP_1)
	v_max_u32_e32 v21, 1, v20
	v_mov_b32_e32 v20, 0
.LBB27_42:                              ; =>This Inner Loop Header: Depth=1
	s_delay_alu instid0(VALU_DEP_2) | instskip(NEXT) | instid1(VALU_DEP_1)
	v_mul_hi_u32 v22, 0xbc8f1391, v21
	v_lshrrev_b32_e32 v22, 15, v22
	s_delay_alu instid0(VALU_DEP_1) | instskip(NEXT) | instid1(VALU_DEP_1)
	v_mul_u32_u24_e32 v23, 0xadc8, v22
	v_sub_nc_u32_e32 v21, v21, v23
	v_mul_u32_u24_e32 v22, 0xd47, v22
	s_delay_alu instid0(VALU_DEP_2) | instskip(NEXT) | instid1(VALU_DEP_2)
	v_mul_lo_u32 v21, 0xbc8f, v21
	v_xor_b32_e32 v23, 0x7fffffff, v22
	v_sub_nc_u32_e32 v24, 0, v22
	s_delay_alu instid0(VALU_DEP_3) | instskip(NEXT) | instid1(VALU_DEP_2)
	v_cmp_lt_u32_e32 vcc_lo, v21, v22
	v_cndmask_b32_e32 v22, v24, v23, vcc_lo
	s_delay_alu instid0(VALU_DEP_1) | instskip(NEXT) | instid1(VALU_DEP_1)
	v_add_nc_u32_e32 v21, v22, v21
	v_mul_hi_u32 v22, 0xbc8f1391, v21
	s_delay_alu instid0(VALU_DEP_1) | instskip(NEXT) | instid1(VALU_DEP_1)
	v_lshrrev_b32_e32 v22, 15, v22
	v_mul_u32_u24_e32 v23, 0xadc8, v22
	v_mul_u32_u24_e32 v22, 0xd47, v22
	s_delay_alu instid0(VALU_DEP_2) | instskip(NEXT) | instid1(VALU_DEP_2)
	v_sub_nc_u32_e32 v23, v21, v23
	v_xor_b32_e32 v24, 0x7fffffff, v22
	v_add_nc_u32_e32 v21, -1, v21
	s_delay_alu instid0(VALU_DEP_3) | instskip(SKIP_1) | instid1(VALU_DEP_2)
	v_mul_lo_u32 v23, 0xbc8f, v23
	v_sub_nc_u32_e32 v25, 0, v22
	v_cmp_lt_u32_e32 vcc_lo, v23, v22
	s_delay_alu instid0(VALU_DEP_2) | instskip(NEXT) | instid1(VALU_DEP_1)
	v_cndmask_b32_e32 v22, v25, v24, vcc_lo
	v_add_nc_u32_e32 v23, v22, v23
	s_delay_alu instid0(VALU_DEP_1) | instskip(NEXT) | instid1(VALU_DEP_1)
	v_mul_hi_u32 v22, 0xbc8f1391, v23
	v_lshrrev_b32_e32 v22, 15, v22
	s_delay_alu instid0(VALU_DEP_1) | instskip(SKIP_1) | instid1(VALU_DEP_2)
	v_mul_u32_u24_e32 v24, 0xadc8, v22
	v_mul_u32_u24_e32 v22, 0xd47, v22
	v_sub_nc_u32_e32 v24, v23, v24
	s_delay_alu instid0(VALU_DEP_2) | instskip(NEXT) | instid1(VALU_DEP_2)
	v_xor_b32_e32 v25, 0x7fffffff, v22
	v_mul_lo_u32 v24, 0xbc8f, v24
	v_sub_nc_u32_e32 v26, 0, v22
	s_delay_alu instid0(VALU_DEP_2) | instskip(NEXT) | instid1(VALU_DEP_2)
	v_cmp_lt_u32_e32 vcc_lo, v24, v22
	v_dual_cndmask_b32 v22, v26, v25, vcc_lo :: v_dual_add_f32 v26, 1.0, v20
	s_delay_alu instid0(VALU_DEP_1) | instskip(NEXT) | instid1(VALU_DEP_1)
	v_add_nc_u32_e32 v24, v22, v24
	v_mul_hi_u32 v22, 0xbc8f1391, v24
	s_delay_alu instid0(VALU_DEP_1) | instskip(NEXT) | instid1(VALU_DEP_1)
	v_lshrrev_b32_e32 v22, 15, v22
	v_mul_u32_u24_e32 v25, 0xadc8, v22
	v_mul_u32_u24_e32 v27, 0xd47, v22
	v_cvt_f32_u32_e32 v22, v21
	s_delay_alu instid0(VALU_DEP_3) | instskip(NEXT) | instid1(VALU_DEP_3)
	v_sub_nc_u32_e32 v25, v24, v25
	v_xor_b32_e32 v21, 0x7fffffff, v27
	v_dual_sub_nc_u32 v28, 0, v27 :: v_dual_add_nc_u32 v24, -1, v24
	s_delay_alu instid0(VALU_DEP_3) | instskip(NEXT) | instid1(VALU_DEP_2)
	v_mul_lo_u32 v25, 0xbc8f, v25
	v_cvt_f32_u32_e32 v24, v24
	s_delay_alu instid0(VALU_DEP_2) | instskip(NEXT) | instid1(VALU_DEP_4)
	v_cmp_lt_u32_e32 vcc_lo, v25, v27
	v_dual_add_nc_u32 v23, -1, v23 :: v_dual_cndmask_b32 v21, v28, v21, vcc_lo
	s_delay_alu instid0(VALU_DEP_1) | instskip(NEXT) | instid1(VALU_DEP_2)
	v_cvt_f32_u32_e32 v23, v23
	v_add_nc_u32_e32 v21, v21, v25
	s_delay_alu instid0(VALU_DEP_2) | instskip(NEXT) | instid1(VALU_DEP_1)
	v_pk_fma_f32 v[22:23], v[22:23], s[4:5], 0 op_sel_hi:[1,0,0]
	v_pk_mul_f32 v[22:23], v[22:23], v[22:23]
	s_delay_alu instid0(VALU_DEP_1) | instskip(NEXT) | instid1(VALU_DEP_1)
	v_dual_add_nc_u32 v25, -1, v21 :: v_dual_add_f32 v27, v22, v23
	v_cvt_f32_u32_e32 v25, v25
	s_delay_alu instid0(VALU_DEP_2) | instskip(NEXT) | instid1(VALU_DEP_2)
	v_cmp_gt_f32_e32 vcc_lo, 0xf800000, v27
	v_pk_fma_f32 v[22:23], v[24:25], s[4:5], 0 op_sel_hi:[1,0,0]
	s_add_co_i32 s5, s5, -2
	s_delay_alu instid0(SALU_CYCLE_1) | instskip(NEXT) | instid1(VALU_DEP_1)
	s_cmp_lg_u32 s5, 0
	v_pk_mul_f32 v[22:23], v[22:23], v[22:23]
	s_delay_alu instid0(VALU_DEP_1) | instskip(NEXT) | instid1(VALU_DEP_1)
	v_add_f32_e32 v22, v22, v23
	v_dual_mul_f32 v24, 0x4f800000, v27 :: v_dual_mul_f32 v25, 0x4f800000, v22
	s_delay_alu instid0(VALU_DEP_1) | instskip(SKIP_1) | instid1(VALU_DEP_2)
	v_cndmask_b32_e32 v24, v27, v24, vcc_lo
	v_cmp_gt_f32_e64 s2, 0xf800000, v22
	v_sqrt_f32_e32 v23, v24
	v_nop
	s_delay_alu instid0(TRANS32_DEP_1) | instskip(NEXT) | instid1(VALU_DEP_1)
	v_dual_add_nc_u32 v27, -1, v23 :: v_dual_cndmask_b32 v22, v22, v25, s2
	v_dual_add_nc_u32 v25, 1, v23 :: v_dual_fma_f32 v28, -v27, v23, v24
	s_delay_alu instid0(VALU_DEP_2) | instskip(NEXT) | instid1(VALU_DEP_1)
	v_sqrt_f32_e32 v29, v22
	v_fma_f32 v30, -v25, v23, v24
	s_delay_alu instid0(VALU_DEP_2)
	v_cmp_ge_f32_e64 s3, 0, v28
	s_delay_alu instid0(TRANS32_DEP_1) | instid1(VALU_DEP_1)
	v_dual_cndmask_b32 v23, v23, v27, s3 :: v_dual_add_nc_u32 v27, -1, v29
	s_delay_alu instid0(VALU_DEP_3) | instskip(NEXT) | instid1(VALU_DEP_1)
	v_cmp_lt_f32_e64 s3, 0, v30
	v_cndmask_b32_e64 v23, v23, v25, s3
	s_delay_alu instid0(VALU_DEP_3) | instskip(NEXT) | instid1(VALU_DEP_1)
	v_dual_add_nc_u32 v25, 1, v29 :: v_dual_fma_f32 v28, -v27, v29, v22
	v_fma_f32 v31, -v25, v29, v22
	s_delay_alu instid0(VALU_DEP_2) | instskip(NEXT) | instid1(VALU_DEP_1)
	v_cmp_ge_f32_e64 s3, 0, v28
	v_cndmask_b32_e64 v27, v29, v27, s3
	v_mul_f32_e32 v30, 0x37800000, v23
	s_delay_alu instid0(VALU_DEP_4) | instskip(NEXT) | instid1(VALU_DEP_1)
	v_cmp_lt_f32_e64 s3, 0, v31
	v_cndmask_b32_e64 v25, v27, v25, s3
	s_delay_alu instid0(VALU_DEP_3) | instskip(SKIP_1) | instid1(VALU_DEP_2)
	v_cndmask_b32_e32 v23, v23, v30, vcc_lo
	v_cmp_class_f32_e64 vcc_lo, v24, 0x260
	v_cndmask_b32_e32 v23, v23, v24, vcc_lo
	s_delay_alu instid0(VALU_DEP_1) | instskip(SKIP_3) | instid1(VALU_DEP_2)
	v_cmp_nge_f32_e32 vcc_lo, 1.0, v23
	v_cndmask_b32_e32 v20, v26, v20, vcc_lo
	v_mul_f32_e32 v24, 0x37800000, v25
	v_cmp_class_f32_e64 vcc_lo, v22, 0x260
	v_cndmask_b32_e64 v23, v25, v24, s2
	s_delay_alu instid0(VALU_DEP_1) | instskip(NEXT) | instid1(VALU_DEP_1)
	v_dual_add_f32 v24, 1.0, v20 :: v_dual_cndmask_b32 v22, v23, v22, vcc_lo
	v_cmp_nge_f32_e32 vcc_lo, 1.0, v22
	s_delay_alu instid0(VALU_DEP_2)
	v_cndmask_b32_e32 v20, v24, v20, vcc_lo
	s_cbranch_scc1 .LBB27_42
; %bb.43:
	v_add_nc_u32_e32 v21, 0x80057016, v6
	s_movk_i32 s5, 0x2710
	s_brev_b32 s4, 12
	s_delay_alu instid0(VALU_DEP_1) | instskip(NEXT) | instid1(VALU_DEP_1)
	v_lshrrev_b32_e32 v22, 19, v21
	v_xor3_b32 v21, v21, v22, 0xc761c23c
	s_delay_alu instid0(VALU_DEP_1) | instskip(NEXT) | instid1(VALU_DEP_1)
	v_lshl_add_u32 v21, v21, 5, v21
	v_add_nc_u32_e32 v22, 0xe9f8cc1d, v21
	v_lshl_add_u32 v21, v21, 9, 0xaccf6200
	s_delay_alu instid0(VALU_DEP_1) | instskip(NEXT) | instid1(VALU_DEP_1)
	v_xor_b32_e32 v21, v22, v21
	v_lshlrev_b32_e32 v22, 3, v21
	s_delay_alu instid0(VALU_DEP_1) | instskip(NEXT) | instid1(VALU_DEP_1)
	v_add3_u32 v21, v21, v22, 0xfd7046c5
	v_lshrrev_b32_e32 v22, 16, v21
	s_delay_alu instid0(VALU_DEP_1) | instskip(NEXT) | instid1(VALU_DEP_1)
	v_xor3_b32 v21, v21, v22, 0xb55a4f09
	v_mul_hi_u32 v22, v21, 3
	s_delay_alu instid0(VALU_DEP_1) | instskip(NEXT) | instid1(VALU_DEP_1)
	v_sub_nc_u32_e32 v23, v21, v22
	v_lshrrev_b32_e32 v23, 1, v23
	s_delay_alu instid0(VALU_DEP_1) | instskip(NEXT) | instid1(VALU_DEP_1)
	v_add_nc_u32_e32 v22, v23, v22
	v_lshrrev_b32_e32 v22, 30, v22
	s_delay_alu instid0(VALU_DEP_1) | instskip(NEXT) | instid1(VALU_DEP_1)
	v_mul_lo_u32 v22, 0x7fffffff, v22
	v_sub_nc_u32_e32 v21, v21, v22
	s_delay_alu instid0(VALU_DEP_1)
	v_max_u32_e32 v22, 1, v21
	v_mov_b32_e32 v21, 0
.LBB27_44:                              ; =>This Inner Loop Header: Depth=1
	s_delay_alu instid0(VALU_DEP_2) | instskip(NEXT) | instid1(VALU_DEP_1)
	v_mul_hi_u32 v23, 0xbc8f1391, v22
	v_dual_add_f32 v28, 1.0, v21 :: v_dual_lshrrev_b32 v23, 15, v23
	s_delay_alu instid0(VALU_DEP_1) | instskip(NEXT) | instid1(VALU_DEP_1)
	v_mul_u32_u24_e32 v24, 0xadc8, v23
	v_sub_nc_u32_e32 v22, v22, v24
	v_mul_u32_u24_e32 v23, 0xd47, v23
	s_delay_alu instid0(VALU_DEP_2) | instskip(NEXT) | instid1(VALU_DEP_2)
	v_mul_lo_u32 v22, 0xbc8f, v22
	v_xor_b32_e32 v24, 0x7fffffff, v23
	v_sub_nc_u32_e32 v25, 0, v23
	s_delay_alu instid0(VALU_DEP_3) | instskip(NEXT) | instid1(VALU_DEP_2)
	v_cmp_lt_u32_e32 vcc_lo, v22, v23
	v_cndmask_b32_e32 v23, v25, v24, vcc_lo
	s_delay_alu instid0(VALU_DEP_1) | instskip(NEXT) | instid1(VALU_DEP_1)
	v_add_nc_u32_e32 v22, v23, v22
	v_mul_hi_u32 v23, 0xbc8f1391, v22
	s_delay_alu instid0(VALU_DEP_1) | instskip(NEXT) | instid1(VALU_DEP_1)
	v_lshrrev_b32_e32 v23, 15, v23
	v_mul_u32_u24_e32 v24, 0xadc8, v23
	v_mul_u32_u24_e32 v23, 0xd47, v23
	s_delay_alu instid0(VALU_DEP_2) | instskip(NEXT) | instid1(VALU_DEP_2)
	v_sub_nc_u32_e32 v24, v22, v24
	v_xor_b32_e32 v25, 0x7fffffff, v23
	v_add_nc_u32_e32 v22, -1, v22
	s_delay_alu instid0(VALU_DEP_3) | instskip(SKIP_1) | instid1(VALU_DEP_2)
	v_mul_lo_u32 v24, 0xbc8f, v24
	v_sub_nc_u32_e32 v26, 0, v23
	v_cmp_lt_u32_e32 vcc_lo, v24, v23
	s_delay_alu instid0(VALU_DEP_2) | instskip(NEXT) | instid1(VALU_DEP_1)
	v_cndmask_b32_e32 v23, v26, v25, vcc_lo
	v_add_nc_u32_e32 v23, v23, v24
	s_delay_alu instid0(VALU_DEP_1) | instskip(NEXT) | instid1(VALU_DEP_1)
	v_mul_hi_u32 v24, 0xbc8f1391, v23
	v_lshrrev_b32_e32 v24, 15, v24
	s_delay_alu instid0(VALU_DEP_1) | instskip(SKIP_1) | instid1(VALU_DEP_2)
	v_mul_u32_u24_e32 v25, 0xadc8, v24
	v_mul_u32_u24_e32 v24, 0xd47, v24
	v_sub_nc_u32_e32 v25, v23, v25
	s_delay_alu instid0(VALU_DEP_2) | instskip(SKIP_1) | instid1(VALU_DEP_3)
	v_xor_b32_e32 v26, 0x7fffffff, v24
	v_dual_sub_nc_u32 v27, 0, v24 :: v_dual_add_nc_u32 v23, -1, v23
	v_mul_lo_u32 v25, 0xbc8f, v25
	s_delay_alu instid0(VALU_DEP_1) | instskip(NEXT) | instid1(VALU_DEP_3)
	v_cmp_lt_u32_e32 vcc_lo, v25, v24
	v_cndmask_b32_e32 v24, v27, v26, vcc_lo
	s_delay_alu instid0(VALU_DEP_1) | instskip(NEXT) | instid1(VALU_DEP_1)
	v_add_nc_u32_e32 v26, v24, v25
	v_mul_hi_u32 v24, 0xbc8f1391, v26
	s_delay_alu instid0(VALU_DEP_1) | instskip(NEXT) | instid1(VALU_DEP_1)
	v_lshrrev_b32_e32 v24, 15, v24
	v_mul_u32_u24_e32 v25, 0xadc8, v24
	s_delay_alu instid0(VALU_DEP_1) | instskip(NEXT) | instid1(VALU_DEP_1)
	v_sub_nc_u32_e32 v25, v26, v25
	v_mul_lo_u32 v27, 0xbc8f, v25
	v_mul_u32_u24_e32 v25, 0xd47, v24
	v_cvt_f32_u32_e32 v24, v22
	s_delay_alu instid0(VALU_DEP_2) | instskip(SKIP_4) | instid1(VALU_DEP_2)
	v_xor_b32_e32 v22, 0x7fffffff, v25
	v_sub_nc_u32_e32 v29, 0, v25
	v_cmp_lt_u32_e32 vcc_lo, v27, v25
	v_cvt_f32_u32_e32 v25, v23
	v_add_nc_u32_e32 v23, -1, v26
	v_pk_fma_f32 v[24:25], v[24:25], s[4:5], 0 op_sel_hi:[1,0,0]
	s_delay_alu instid0(VALU_DEP_2) | instskip(NEXT) | instid1(VALU_DEP_2)
	v_cvt_f32_u32_e32 v26, v23
	v_pk_mul_f32 v[24:25], v[24:25], v[24:25]
	s_delay_alu instid0(VALU_DEP_1) | instskip(NEXT) | instid1(VALU_DEP_1)
	v_dual_cndmask_b32 v22, v29, v22 :: v_dual_add_f32 v23, v24, v25
	v_add_nc_u32_e32 v22, v22, v27
	s_delay_alu instid0(VALU_DEP_2) | instskip(NEXT) | instid1(VALU_DEP_2)
	v_cmp_gt_f32_e32 vcc_lo, 0xf800000, v23
	v_add_nc_u32_e32 v27, -1, v22
	s_delay_alu instid0(VALU_DEP_1) | instskip(NEXT) | instid1(VALU_DEP_1)
	v_cvt_f32_u32_e32 v27, v27
	v_pk_fma_f32 v[24:25], v[26:27], s[4:5], 0 op_sel_hi:[1,0,0]
	v_mul_f32_e32 v26, 0x4f800000, v23
	s_add_co_i32 s5, s5, -2
	s_delay_alu instid0(SALU_CYCLE_1) | instskip(NEXT) | instid1(VALU_DEP_2)
	s_cmp_lg_u32 s5, 0
	v_pk_mul_f32 v[24:25], v[24:25], v[24:25]
	s_delay_alu instid0(VALU_DEP_1) | instskip(NEXT) | instid1(VALU_DEP_1)
	v_dual_add_f32 v24, v24, v25 :: v_dual_cndmask_b32 v23, v23, v26
	v_mul_f32_e32 v26, 0x4f800000, v24
	s_delay_alu instid0(VALU_DEP_2)
	v_sqrt_f32_e32 v25, v23
	v_cmp_gt_f32_e64 s2, 0xf800000, v24
	s_delay_alu instid0(TRANS32_DEP_1) | instid1(VALU_DEP_1)
	v_dual_cndmask_b32 v24, v24, v26, s2 :: v_dual_add_nc_u32 v27, -1, v25
	v_add_nc_u32_e32 v26, 1, v25
	s_delay_alu instid0(VALU_DEP_2) | instskip(NEXT) | instid1(VALU_DEP_2)
	v_sqrt_f32_e32 v30, v24
	v_fma_f32 v29, -v27, v25, v23
	s_delay_alu instid0(VALU_DEP_1) | instskip(NEXT) | instid1(VALU_DEP_1)
	v_cmp_ge_f32_e64 s3, 0, v29
	v_dual_fma_f32 v31, -v26, v25, v23 :: v_dual_cndmask_b32 v25, v25, v27, s3
	s_delay_alu instid0(VALU_DEP_1) | instskip(NEXT) | instid1(TRANS32_DEP_1)
	v_cmp_lt_f32_e64 s3, 0, v31
	v_add_nc_u32_e32 v27, -1, v30
	s_delay_alu instid0(VALU_DEP_2) | instskip(NEXT) | instid1(VALU_DEP_2)
	v_cndmask_b32_e64 v25, v25, v26, s3
	v_dual_add_nc_u32 v26, 1, v30 :: v_dual_fma_f32 v29, -v27, v30, v24
	s_delay_alu instid0(VALU_DEP_1) | instskip(NEXT) | instid1(VALU_DEP_2)
	v_fma_f32 v32, -v26, v30, v24
	v_cmp_ge_f32_e64 s3, 0, v29
	s_delay_alu instid0(VALU_DEP_1) | instskip(SKIP_1) | instid1(VALU_DEP_4)
	v_cndmask_b32_e64 v27, v30, v27, s3
	v_mul_f32_e32 v31, 0x37800000, v25
	v_cmp_lt_f32_e64 s3, 0, v32
	s_delay_alu instid0(VALU_DEP_1) | instskip(SKIP_1) | instid1(VALU_DEP_2)
	v_dual_cndmask_b32 v25, v25, v31, vcc_lo :: v_dual_cndmask_b32 v26, v27, v26, s3
	v_cmp_class_f32_e64 vcc_lo, v23, 0x260
	v_cndmask_b32_e32 v23, v25, v23, vcc_lo
	s_delay_alu instid0(VALU_DEP_3) | instskip(NEXT) | instid1(VALU_DEP_2)
	v_mul_f32_e32 v25, 0x37800000, v26
	v_cmp_nge_f32_e32 vcc_lo, 1.0, v23
	s_delay_alu instid0(VALU_DEP_2) | instskip(SKIP_2) | instid1(VALU_DEP_1)
	v_cndmask_b32_e64 v23, v26, v25, s2
	v_cndmask_b32_e32 v21, v28, v21, vcc_lo
	v_cmp_class_f32_e64 vcc_lo, v24, 0x260
	v_dual_add_f32 v25, 1.0, v21 :: v_dual_cndmask_b32 v23, v23, v24, vcc_lo
	s_delay_alu instid0(VALU_DEP_1) | instskip(NEXT) | instid1(VALU_DEP_2)
	v_cmp_nge_f32_e32 vcc_lo, 1.0, v23
	v_cndmask_b32_e32 v21, v25, v21, vcc_lo
	s_cbranch_scc1 .LBB27_44
; %bb.45:
	v_add_nc_u32_e32 v22, 0x80157116, v6
	s_movk_i32 s5, 0x2710
	s_brev_b32 s4, 12
	s_delay_alu instid0(VALU_DEP_1) | instskip(NEXT) | instid1(VALU_DEP_1)
	v_lshrrev_b32_e32 v23, 19, v22
	v_xor3_b32 v22, v22, v23, 0xc761c23c
	s_delay_alu instid0(VALU_DEP_1) | instskip(NEXT) | instid1(VALU_DEP_1)
	v_lshl_add_u32 v22, v22, 5, v22
	v_add_nc_u32_e32 v23, 0xe9f8cc1d, v22
	v_lshl_add_u32 v22, v22, 9, 0xaccf6200
	s_delay_alu instid0(VALU_DEP_1) | instskip(NEXT) | instid1(VALU_DEP_1)
	v_xor_b32_e32 v22, v23, v22
	v_lshlrev_b32_e32 v23, 3, v22
	s_delay_alu instid0(VALU_DEP_1) | instskip(NEXT) | instid1(VALU_DEP_1)
	v_add3_u32 v22, v22, v23, 0xfd7046c5
	v_lshrrev_b32_e32 v23, 16, v22
	s_delay_alu instid0(VALU_DEP_1) | instskip(NEXT) | instid1(VALU_DEP_1)
	v_xor3_b32 v22, v22, v23, 0xb55a4f09
	v_mul_hi_u32 v23, v22, 3
	s_delay_alu instid0(VALU_DEP_1) | instskip(NEXT) | instid1(VALU_DEP_1)
	v_sub_nc_u32_e32 v24, v22, v23
	v_lshrrev_b32_e32 v24, 1, v24
	s_delay_alu instid0(VALU_DEP_1) | instskip(NEXT) | instid1(VALU_DEP_1)
	v_add_nc_u32_e32 v23, v24, v23
	v_lshrrev_b32_e32 v23, 30, v23
	s_delay_alu instid0(VALU_DEP_1) | instskip(NEXT) | instid1(VALU_DEP_1)
	v_mul_lo_u32 v23, 0x7fffffff, v23
	v_sub_nc_u32_e32 v22, v22, v23
	s_delay_alu instid0(VALU_DEP_1)
	v_max_u32_e32 v23, 1, v22
	v_mov_b32_e32 v22, 0
.LBB27_46:                              ; =>This Inner Loop Header: Depth=1
	s_delay_alu instid0(VALU_DEP_2) | instskip(NEXT) | instid1(VALU_DEP_1)
	v_mul_hi_u32 v24, 0xbc8f1391, v23
	v_lshrrev_b32_e32 v24, 15, v24
	s_delay_alu instid0(VALU_DEP_1) | instskip(NEXT) | instid1(VALU_DEP_1)
	v_mul_u32_u24_e32 v25, 0xadc8, v24
	v_sub_nc_u32_e32 v23, v23, v25
	v_mul_u32_u24_e32 v24, 0xd47, v24
	s_delay_alu instid0(VALU_DEP_2) | instskip(NEXT) | instid1(VALU_DEP_2)
	v_mul_lo_u32 v23, 0xbc8f, v23
	v_xor_b32_e32 v25, 0x7fffffff, v24
	v_sub_nc_u32_e32 v26, 0, v24
	s_delay_alu instid0(VALU_DEP_3) | instskip(NEXT) | instid1(VALU_DEP_2)
	v_cmp_lt_u32_e32 vcc_lo, v23, v24
	v_cndmask_b32_e32 v24, v26, v25, vcc_lo
	s_delay_alu instid0(VALU_DEP_1) | instskip(NEXT) | instid1(VALU_DEP_1)
	v_add_nc_u32_e32 v23, v24, v23
	v_mul_hi_u32 v24, 0xbc8f1391, v23
	s_delay_alu instid0(VALU_DEP_1) | instskip(NEXT) | instid1(VALU_DEP_1)
	v_lshrrev_b32_e32 v24, 15, v24
	v_mul_u32_u24_e32 v25, 0xadc8, v24
	v_mul_u32_u24_e32 v24, 0xd47, v24
	s_delay_alu instid0(VALU_DEP_2) | instskip(NEXT) | instid1(VALU_DEP_2)
	v_sub_nc_u32_e32 v25, v23, v25
	v_xor_b32_e32 v26, 0x7fffffff, v24
	v_add_nc_u32_e32 v23, -1, v23
	s_delay_alu instid0(VALU_DEP_3) | instskip(SKIP_1) | instid1(VALU_DEP_2)
	v_mul_lo_u32 v25, 0xbc8f, v25
	v_sub_nc_u32_e32 v27, 0, v24
	v_cmp_lt_u32_e32 vcc_lo, v25, v24
	s_delay_alu instid0(VALU_DEP_2) | instskip(NEXT) | instid1(VALU_DEP_1)
	v_cndmask_b32_e32 v24, v27, v26, vcc_lo
	v_add_nc_u32_e32 v25, v24, v25
	s_delay_alu instid0(VALU_DEP_1) | instskip(NEXT) | instid1(VALU_DEP_1)
	v_mul_hi_u32 v24, 0xbc8f1391, v25
	v_lshrrev_b32_e32 v24, 15, v24
	s_delay_alu instid0(VALU_DEP_1) | instskip(SKIP_1) | instid1(VALU_DEP_2)
	v_mul_u32_u24_e32 v26, 0xadc8, v24
	v_mul_u32_u24_e32 v24, 0xd47, v24
	v_sub_nc_u32_e32 v26, v25, v26
	s_delay_alu instid0(VALU_DEP_2) | instskip(NEXT) | instid1(VALU_DEP_2)
	v_xor_b32_e32 v27, 0x7fffffff, v24
	v_mul_lo_u32 v26, 0xbc8f, v26
	v_sub_nc_u32_e32 v28, 0, v24
	s_delay_alu instid0(VALU_DEP_2) | instskip(NEXT) | instid1(VALU_DEP_2)
	v_cmp_lt_u32_e32 vcc_lo, v26, v24
	v_dual_cndmask_b32 v24, v28, v27, vcc_lo :: v_dual_add_f32 v28, 1.0, v22
	s_delay_alu instid0(VALU_DEP_1) | instskip(NEXT) | instid1(VALU_DEP_1)
	v_add_nc_u32_e32 v26, v24, v26
	v_mul_hi_u32 v24, 0xbc8f1391, v26
	s_delay_alu instid0(VALU_DEP_1) | instskip(NEXT) | instid1(VALU_DEP_1)
	v_lshrrev_b32_e32 v24, 15, v24
	v_mul_u32_u24_e32 v27, 0xadc8, v24
	v_mul_u32_u24_e32 v29, 0xd47, v24
	v_cvt_f32_u32_e32 v24, v23
	s_delay_alu instid0(VALU_DEP_3) | instskip(NEXT) | instid1(VALU_DEP_3)
	v_sub_nc_u32_e32 v27, v26, v27
	v_xor_b32_e32 v23, 0x7fffffff, v29
	v_dual_sub_nc_u32 v30, 0, v29 :: v_dual_add_nc_u32 v26, -1, v26
	s_delay_alu instid0(VALU_DEP_3) | instskip(NEXT) | instid1(VALU_DEP_2)
	v_mul_lo_u32 v27, 0xbc8f, v27
	v_cvt_f32_u32_e32 v26, v26
	s_delay_alu instid0(VALU_DEP_2) | instskip(NEXT) | instid1(VALU_DEP_4)
	v_cmp_lt_u32_e32 vcc_lo, v27, v29
	v_dual_add_nc_u32 v25, -1, v25 :: v_dual_cndmask_b32 v23, v30, v23, vcc_lo
	s_delay_alu instid0(VALU_DEP_1) | instskip(NEXT) | instid1(VALU_DEP_2)
	v_cvt_f32_u32_e32 v25, v25
	v_add_nc_u32_e32 v23, v23, v27
	s_delay_alu instid0(VALU_DEP_2) | instskip(NEXT) | instid1(VALU_DEP_1)
	v_pk_fma_f32 v[24:25], v[24:25], s[4:5], 0 op_sel_hi:[1,0,0]
	v_pk_mul_f32 v[24:25], v[24:25], v[24:25]
	s_delay_alu instid0(VALU_DEP_1) | instskip(NEXT) | instid1(VALU_DEP_1)
	v_dual_add_nc_u32 v27, -1, v23 :: v_dual_add_f32 v29, v24, v25
	v_cvt_f32_u32_e32 v27, v27
	s_delay_alu instid0(VALU_DEP_2) | instskip(NEXT) | instid1(VALU_DEP_2)
	v_cmp_gt_f32_e32 vcc_lo, 0xf800000, v29
	v_pk_fma_f32 v[24:25], v[26:27], s[4:5], 0 op_sel_hi:[1,0,0]
	s_add_co_i32 s5, s5, -2
	s_delay_alu instid0(SALU_CYCLE_1) | instskip(NEXT) | instid1(VALU_DEP_1)
	s_cmp_lg_u32 s5, 0
	v_pk_mul_f32 v[24:25], v[24:25], v[24:25]
	s_delay_alu instid0(VALU_DEP_1) | instskip(NEXT) | instid1(VALU_DEP_1)
	v_add_f32_e32 v24, v24, v25
	v_dual_mul_f32 v26, 0x4f800000, v29 :: v_dual_mul_f32 v27, 0x4f800000, v24
	s_delay_alu instid0(VALU_DEP_1) | instskip(SKIP_1) | instid1(VALU_DEP_2)
	v_cndmask_b32_e32 v26, v29, v26, vcc_lo
	v_cmp_gt_f32_e64 s2, 0xf800000, v24
	v_sqrt_f32_e32 v25, v26
	v_nop
	s_delay_alu instid0(TRANS32_DEP_1) | instskip(NEXT) | instid1(VALU_DEP_1)
	v_dual_add_nc_u32 v29, -1, v25 :: v_dual_cndmask_b32 v24, v24, v27, s2
	v_dual_add_nc_u32 v27, 1, v25 :: v_dual_fma_f32 v30, -v29, v25, v26
	s_delay_alu instid0(VALU_DEP_2) | instskip(NEXT) | instid1(VALU_DEP_1)
	v_sqrt_f32_e32 v31, v24
	v_fma_f32 v32, -v27, v25, v26
	s_delay_alu instid0(VALU_DEP_2)
	v_cmp_ge_f32_e64 s3, 0, v30
	s_delay_alu instid0(TRANS32_DEP_1) | instid1(VALU_DEP_1)
	v_dual_cndmask_b32 v25, v25, v29, s3 :: v_dual_add_nc_u32 v29, -1, v31
	s_delay_alu instid0(VALU_DEP_3) | instskip(NEXT) | instid1(VALU_DEP_1)
	v_cmp_lt_f32_e64 s3, 0, v32
	v_cndmask_b32_e64 v25, v25, v27, s3
	s_delay_alu instid0(VALU_DEP_3) | instskip(NEXT) | instid1(VALU_DEP_1)
	v_dual_add_nc_u32 v27, 1, v31 :: v_dual_fma_f32 v30, -v29, v31, v24
	v_fma_f32 v33, -v27, v31, v24
	s_delay_alu instid0(VALU_DEP_2) | instskip(NEXT) | instid1(VALU_DEP_1)
	v_cmp_ge_f32_e64 s3, 0, v30
	v_cndmask_b32_e64 v29, v31, v29, s3
	v_mul_f32_e32 v32, 0x37800000, v25
	s_delay_alu instid0(VALU_DEP_4) | instskip(NEXT) | instid1(VALU_DEP_1)
	v_cmp_lt_f32_e64 s3, 0, v33
	v_cndmask_b32_e64 v27, v29, v27, s3
	s_delay_alu instid0(VALU_DEP_3) | instskip(SKIP_1) | instid1(VALU_DEP_2)
	v_cndmask_b32_e32 v25, v25, v32, vcc_lo
	v_cmp_class_f32_e64 vcc_lo, v26, 0x260
	v_cndmask_b32_e32 v25, v25, v26, vcc_lo
	s_delay_alu instid0(VALU_DEP_1) | instskip(SKIP_3) | instid1(VALU_DEP_2)
	v_cmp_nge_f32_e32 vcc_lo, 1.0, v25
	v_cndmask_b32_e32 v22, v28, v22, vcc_lo
	v_mul_f32_e32 v26, 0x37800000, v27
	v_cmp_class_f32_e64 vcc_lo, v24, 0x260
	v_cndmask_b32_e64 v25, v27, v26, s2
	s_delay_alu instid0(VALU_DEP_1) | instskip(NEXT) | instid1(VALU_DEP_1)
	v_dual_add_f32 v26, 1.0, v22 :: v_dual_cndmask_b32 v24, v25, v24, vcc_lo
	v_cmp_nge_f32_e32 vcc_lo, 1.0, v24
	s_delay_alu instid0(VALU_DEP_2)
	v_cndmask_b32_e32 v22, v26, v22, vcc_lo
	s_cbranch_scc1 .LBB27_46
; %bb.47:
	v_add_nc_u32_e32 v23, 0x80257216, v6
	s_movk_i32 s5, 0x2710
	s_brev_b32 s4, 12
	s_delay_alu instid0(VALU_DEP_1) | instskip(NEXT) | instid1(VALU_DEP_1)
	v_lshrrev_b32_e32 v24, 19, v23
	v_xor3_b32 v23, v23, v24, 0xc761c23c
	s_delay_alu instid0(VALU_DEP_1) | instskip(NEXT) | instid1(VALU_DEP_1)
	v_lshl_add_u32 v23, v23, 5, v23
	v_add_nc_u32_e32 v24, 0xe9f8cc1d, v23
	v_lshl_add_u32 v23, v23, 9, 0xaccf6200
	s_delay_alu instid0(VALU_DEP_1) | instskip(NEXT) | instid1(VALU_DEP_1)
	v_xor_b32_e32 v23, v24, v23
	v_lshlrev_b32_e32 v24, 3, v23
	s_delay_alu instid0(VALU_DEP_1) | instskip(NEXT) | instid1(VALU_DEP_1)
	v_add3_u32 v23, v23, v24, 0xfd7046c5
	v_lshrrev_b32_e32 v24, 16, v23
	s_delay_alu instid0(VALU_DEP_1) | instskip(NEXT) | instid1(VALU_DEP_1)
	v_xor3_b32 v23, v23, v24, 0xb55a4f09
	v_mul_hi_u32 v24, v23, 3
	s_delay_alu instid0(VALU_DEP_1) | instskip(NEXT) | instid1(VALU_DEP_1)
	v_sub_nc_u32_e32 v25, v23, v24
	v_lshrrev_b32_e32 v25, 1, v25
	s_delay_alu instid0(VALU_DEP_1) | instskip(NEXT) | instid1(VALU_DEP_1)
	v_add_nc_u32_e32 v24, v25, v24
	v_lshrrev_b32_e32 v24, 30, v24
	s_delay_alu instid0(VALU_DEP_1) | instskip(NEXT) | instid1(VALU_DEP_1)
	v_mul_lo_u32 v24, 0x7fffffff, v24
	v_sub_nc_u32_e32 v23, v23, v24
	s_delay_alu instid0(VALU_DEP_1)
	v_max_u32_e32 v24, 1, v23
	v_mov_b32_e32 v23, 0
.LBB27_48:                              ; =>This Inner Loop Header: Depth=1
	s_delay_alu instid0(VALU_DEP_2) | instskip(NEXT) | instid1(VALU_DEP_1)
	v_mul_hi_u32 v25, 0xbc8f1391, v24
	v_dual_add_f32 v30, 1.0, v23 :: v_dual_lshrrev_b32 v25, 15, v25
	s_delay_alu instid0(VALU_DEP_1) | instskip(NEXT) | instid1(VALU_DEP_1)
	v_mul_u32_u24_e32 v26, 0xadc8, v25
	v_sub_nc_u32_e32 v24, v24, v26
	v_mul_u32_u24_e32 v25, 0xd47, v25
	s_delay_alu instid0(VALU_DEP_2) | instskip(NEXT) | instid1(VALU_DEP_2)
	v_mul_lo_u32 v24, 0xbc8f, v24
	v_xor_b32_e32 v26, 0x7fffffff, v25
	v_sub_nc_u32_e32 v27, 0, v25
	s_delay_alu instid0(VALU_DEP_3) | instskip(NEXT) | instid1(VALU_DEP_2)
	v_cmp_lt_u32_e32 vcc_lo, v24, v25
	v_cndmask_b32_e32 v25, v27, v26, vcc_lo
	s_delay_alu instid0(VALU_DEP_1) | instskip(NEXT) | instid1(VALU_DEP_1)
	v_add_nc_u32_e32 v24, v25, v24
	v_mul_hi_u32 v25, 0xbc8f1391, v24
	s_delay_alu instid0(VALU_DEP_1) | instskip(NEXT) | instid1(VALU_DEP_1)
	v_lshrrev_b32_e32 v25, 15, v25
	v_mul_u32_u24_e32 v26, 0xadc8, v25
	v_mul_u32_u24_e32 v25, 0xd47, v25
	s_delay_alu instid0(VALU_DEP_2) | instskip(NEXT) | instid1(VALU_DEP_2)
	v_sub_nc_u32_e32 v26, v24, v26
	v_xor_b32_e32 v27, 0x7fffffff, v25
	v_add_nc_u32_e32 v24, -1, v24
	s_delay_alu instid0(VALU_DEP_3) | instskip(SKIP_1) | instid1(VALU_DEP_2)
	v_mul_lo_u32 v26, 0xbc8f, v26
	v_sub_nc_u32_e32 v28, 0, v25
	v_cmp_lt_u32_e32 vcc_lo, v26, v25
	s_delay_alu instid0(VALU_DEP_2) | instskip(NEXT) | instid1(VALU_DEP_1)
	v_cndmask_b32_e32 v25, v28, v27, vcc_lo
	v_add_nc_u32_e32 v25, v25, v26
	s_delay_alu instid0(VALU_DEP_1) | instskip(NEXT) | instid1(VALU_DEP_1)
	v_mul_hi_u32 v26, 0xbc8f1391, v25
	v_lshrrev_b32_e32 v26, 15, v26
	s_delay_alu instid0(VALU_DEP_1) | instskip(SKIP_1) | instid1(VALU_DEP_2)
	v_mul_u32_u24_e32 v27, 0xadc8, v26
	v_mul_u32_u24_e32 v26, 0xd47, v26
	v_sub_nc_u32_e32 v27, v25, v27
	s_delay_alu instid0(VALU_DEP_2) | instskip(SKIP_1) | instid1(VALU_DEP_3)
	v_xor_b32_e32 v28, 0x7fffffff, v26
	v_dual_sub_nc_u32 v29, 0, v26 :: v_dual_add_nc_u32 v25, -1, v25
	v_mul_lo_u32 v27, 0xbc8f, v27
	s_delay_alu instid0(VALU_DEP_1) | instskip(NEXT) | instid1(VALU_DEP_3)
	v_cmp_lt_u32_e32 vcc_lo, v27, v26
	v_cndmask_b32_e32 v26, v29, v28, vcc_lo
	s_delay_alu instid0(VALU_DEP_1) | instskip(NEXT) | instid1(VALU_DEP_1)
	v_add_nc_u32_e32 v28, v26, v27
	v_mul_hi_u32 v26, 0xbc8f1391, v28
	s_delay_alu instid0(VALU_DEP_1) | instskip(NEXT) | instid1(VALU_DEP_1)
	v_lshrrev_b32_e32 v26, 15, v26
	v_mul_u32_u24_e32 v27, 0xadc8, v26
	s_delay_alu instid0(VALU_DEP_1) | instskip(NEXT) | instid1(VALU_DEP_1)
	v_sub_nc_u32_e32 v27, v28, v27
	v_mul_lo_u32 v29, 0xbc8f, v27
	v_mul_u32_u24_e32 v27, 0xd47, v26
	v_cvt_f32_u32_e32 v26, v24
	s_delay_alu instid0(VALU_DEP_2) | instskip(SKIP_4) | instid1(VALU_DEP_2)
	v_xor_b32_e32 v24, 0x7fffffff, v27
	v_sub_nc_u32_e32 v31, 0, v27
	v_cmp_lt_u32_e32 vcc_lo, v29, v27
	v_cvt_f32_u32_e32 v27, v25
	v_add_nc_u32_e32 v25, -1, v28
	v_pk_fma_f32 v[26:27], v[26:27], s[4:5], 0 op_sel_hi:[1,0,0]
	s_delay_alu instid0(VALU_DEP_2) | instskip(NEXT) | instid1(VALU_DEP_2)
	v_cvt_f32_u32_e32 v28, v25
	v_pk_mul_f32 v[26:27], v[26:27], v[26:27]
	s_delay_alu instid0(VALU_DEP_1) | instskip(NEXT) | instid1(VALU_DEP_1)
	v_dual_cndmask_b32 v24, v31, v24 :: v_dual_add_f32 v25, v26, v27
	v_add_nc_u32_e32 v24, v24, v29
	s_delay_alu instid0(VALU_DEP_2) | instskip(NEXT) | instid1(VALU_DEP_2)
	v_cmp_gt_f32_e32 vcc_lo, 0xf800000, v25
	v_add_nc_u32_e32 v29, -1, v24
	s_delay_alu instid0(VALU_DEP_1) | instskip(NEXT) | instid1(VALU_DEP_1)
	v_cvt_f32_u32_e32 v29, v29
	v_pk_fma_f32 v[26:27], v[28:29], s[4:5], 0 op_sel_hi:[1,0,0]
	v_mul_f32_e32 v28, 0x4f800000, v25
	s_add_co_i32 s5, s5, -2
	s_delay_alu instid0(SALU_CYCLE_1) | instskip(NEXT) | instid1(VALU_DEP_2)
	s_cmp_lg_u32 s5, 0
	v_pk_mul_f32 v[26:27], v[26:27], v[26:27]
	s_delay_alu instid0(VALU_DEP_1) | instskip(NEXT) | instid1(VALU_DEP_1)
	v_dual_add_f32 v26, v26, v27 :: v_dual_cndmask_b32 v25, v25, v28
	v_mul_f32_e32 v28, 0x4f800000, v26
	s_delay_alu instid0(VALU_DEP_2)
	v_sqrt_f32_e32 v27, v25
	v_cmp_gt_f32_e64 s2, 0xf800000, v26
	s_delay_alu instid0(TRANS32_DEP_1) | instid1(VALU_DEP_1)
	v_dual_cndmask_b32 v26, v26, v28, s2 :: v_dual_add_nc_u32 v29, -1, v27
	v_add_nc_u32_e32 v28, 1, v27
	s_delay_alu instid0(VALU_DEP_2) | instskip(NEXT) | instid1(VALU_DEP_2)
	v_sqrt_f32_e32 v32, v26
	v_fma_f32 v31, -v29, v27, v25
	s_delay_alu instid0(VALU_DEP_1) | instskip(NEXT) | instid1(VALU_DEP_1)
	v_cmp_ge_f32_e64 s3, 0, v31
	v_dual_fma_f32 v33, -v28, v27, v25 :: v_dual_cndmask_b32 v27, v27, v29, s3
	s_delay_alu instid0(VALU_DEP_1) | instskip(NEXT) | instid1(TRANS32_DEP_1)
	v_cmp_lt_f32_e64 s3, 0, v33
	v_add_nc_u32_e32 v29, -1, v32
	s_delay_alu instid0(VALU_DEP_2) | instskip(NEXT) | instid1(VALU_DEP_2)
	v_cndmask_b32_e64 v27, v27, v28, s3
	v_dual_add_nc_u32 v28, 1, v32 :: v_dual_fma_f32 v31, -v29, v32, v26
	s_delay_alu instid0(VALU_DEP_1) | instskip(NEXT) | instid1(VALU_DEP_2)
	v_fma_f32 v34, -v28, v32, v26
	v_cmp_ge_f32_e64 s3, 0, v31
	s_delay_alu instid0(VALU_DEP_1) | instskip(SKIP_1) | instid1(VALU_DEP_4)
	v_cndmask_b32_e64 v29, v32, v29, s3
	v_mul_f32_e32 v33, 0x37800000, v27
	v_cmp_lt_f32_e64 s3, 0, v34
	s_delay_alu instid0(VALU_DEP_1) | instskip(SKIP_1) | instid1(VALU_DEP_2)
	v_dual_cndmask_b32 v27, v27, v33, vcc_lo :: v_dual_cndmask_b32 v28, v29, v28, s3
	v_cmp_class_f32_e64 vcc_lo, v25, 0x260
	v_cndmask_b32_e32 v25, v27, v25, vcc_lo
	s_delay_alu instid0(VALU_DEP_3) | instskip(NEXT) | instid1(VALU_DEP_2)
	v_mul_f32_e32 v27, 0x37800000, v28
	v_cmp_nge_f32_e32 vcc_lo, 1.0, v25
	s_delay_alu instid0(VALU_DEP_2) | instskip(SKIP_2) | instid1(VALU_DEP_1)
	v_cndmask_b32_e64 v25, v28, v27, s2
	v_cndmask_b32_e32 v23, v30, v23, vcc_lo
	v_cmp_class_f32_e64 vcc_lo, v26, 0x260
	v_dual_add_f32 v27, 1.0, v23 :: v_dual_cndmask_b32 v25, v25, v26, vcc_lo
	s_delay_alu instid0(VALU_DEP_1) | instskip(NEXT) | instid1(VALU_DEP_2)
	v_cmp_nge_f32_e32 vcc_lo, 1.0, v25
	v_cndmask_b32_e32 v23, v27, v23, vcc_lo
	s_cbranch_scc1 .LBB27_48
; %bb.49:
	v_add_nc_u32_e32 v24, 0x80357316, v6
	s_movk_i32 s5, 0x2710
	s_brev_b32 s4, 12
	s_delay_alu instid0(VALU_DEP_1) | instskip(NEXT) | instid1(VALU_DEP_1)
	v_lshrrev_b32_e32 v25, 19, v24
	v_xor3_b32 v24, v24, v25, 0xc761c23c
	s_delay_alu instid0(VALU_DEP_1) | instskip(NEXT) | instid1(VALU_DEP_1)
	v_lshl_add_u32 v24, v24, 5, v24
	v_add_nc_u32_e32 v25, 0xe9f8cc1d, v24
	v_lshl_add_u32 v24, v24, 9, 0xaccf6200
	s_delay_alu instid0(VALU_DEP_1) | instskip(NEXT) | instid1(VALU_DEP_1)
	v_xor_b32_e32 v24, v25, v24
	v_lshlrev_b32_e32 v25, 3, v24
	s_delay_alu instid0(VALU_DEP_1) | instskip(NEXT) | instid1(VALU_DEP_1)
	v_add3_u32 v24, v24, v25, 0xfd7046c5
	v_lshrrev_b32_e32 v25, 16, v24
	s_delay_alu instid0(VALU_DEP_1) | instskip(NEXT) | instid1(VALU_DEP_1)
	v_xor3_b32 v24, v24, v25, 0xb55a4f09
	v_mul_hi_u32 v25, v24, 3
	s_delay_alu instid0(VALU_DEP_1) | instskip(NEXT) | instid1(VALU_DEP_1)
	v_sub_nc_u32_e32 v26, v24, v25
	v_lshrrev_b32_e32 v26, 1, v26
	s_delay_alu instid0(VALU_DEP_1) | instskip(NEXT) | instid1(VALU_DEP_1)
	v_add_nc_u32_e32 v25, v26, v25
	v_lshrrev_b32_e32 v25, 30, v25
	s_delay_alu instid0(VALU_DEP_1) | instskip(NEXT) | instid1(VALU_DEP_1)
	v_mul_lo_u32 v25, 0x7fffffff, v25
	v_dual_mov_b32 v25, 0 :: v_dual_sub_nc_u32 v24, v24, v25
	s_delay_alu instid0(VALU_DEP_1)
	v_max_u32_e32 v24, 1, v24
.LBB27_50:                              ; =>This Inner Loop Header: Depth=1
	s_delay_alu instid0(VALU_DEP_1) | instskip(NEXT) | instid1(VALU_DEP_1)
	v_mul_hi_u32 v26, 0xbc8f1391, v24
	v_lshrrev_b32_e32 v26, 15, v26
	s_delay_alu instid0(VALU_DEP_1) | instskip(NEXT) | instid1(VALU_DEP_1)
	v_mul_u32_u24_e32 v27, 0xadc8, v26
	v_sub_nc_u32_e32 v24, v24, v27
	v_mul_u32_u24_e32 v26, 0xd47, v26
	s_delay_alu instid0(VALU_DEP_2) | instskip(NEXT) | instid1(VALU_DEP_2)
	v_mul_lo_u32 v24, 0xbc8f, v24
	v_xor_b32_e32 v27, 0x7fffffff, v26
	v_sub_nc_u32_e32 v28, 0, v26
	s_delay_alu instid0(VALU_DEP_3) | instskip(NEXT) | instid1(VALU_DEP_2)
	v_cmp_lt_u32_e32 vcc_lo, v24, v26
	v_cndmask_b32_e32 v26, v28, v27, vcc_lo
	s_delay_alu instid0(VALU_DEP_1) | instskip(NEXT) | instid1(VALU_DEP_1)
	v_add_nc_u32_e32 v24, v26, v24
	v_mul_hi_u32 v26, 0xbc8f1391, v24
	s_delay_alu instid0(VALU_DEP_1) | instskip(NEXT) | instid1(VALU_DEP_1)
	v_lshrrev_b32_e32 v26, 15, v26
	v_mul_u32_u24_e32 v27, 0xadc8, v26
	s_delay_alu instid0(VALU_DEP_1) | instskip(SKIP_2) | instid1(VALU_DEP_3)
	v_sub_nc_u32_e32 v27, v24, v27
	v_mul_u32_u24_e32 v26, 0xd47, v26
	v_add_nc_u32_e32 v24, -1, v24
	v_mul_lo_u32 v27, 0xbc8f, v27
	s_delay_alu instid0(VALU_DEP_3) | instskip(SKIP_1) | instid1(VALU_DEP_3)
	v_xor_b32_e32 v28, 0x7fffffff, v26
	v_sub_nc_u32_e32 v29, 0, v26
	v_cmp_lt_u32_e32 vcc_lo, v27, v26
	s_delay_alu instid0(VALU_DEP_2) | instskip(NEXT) | instid1(VALU_DEP_1)
	v_cndmask_b32_e32 v26, v29, v28, vcc_lo
	v_add_nc_u32_e32 v27, v26, v27
	s_delay_alu instid0(VALU_DEP_1) | instskip(NEXT) | instid1(VALU_DEP_1)
	v_mul_hi_u32 v26, 0xbc8f1391, v27
	v_lshrrev_b32_e32 v26, 15, v26
	s_delay_alu instid0(VALU_DEP_1) | instskip(SKIP_1) | instid1(VALU_DEP_2)
	v_mul_u32_u24_e32 v28, 0xadc8, v26
	v_mul_u32_u24_e32 v26, 0xd47, v26
	v_sub_nc_u32_e32 v28, v27, v28
	s_delay_alu instid0(VALU_DEP_2) | instskip(NEXT) | instid1(VALU_DEP_2)
	v_xor_b32_e32 v29, 0x7fffffff, v26
	v_mul_lo_u32 v28, 0xbc8f, v28
	v_sub_nc_u32_e32 v30, 0, v26
	s_delay_alu instid0(VALU_DEP_2) | instskip(NEXT) | instid1(VALU_DEP_2)
	v_cmp_lt_u32_e32 vcc_lo, v28, v26
	v_cndmask_b32_e32 v26, v30, v29, vcc_lo
	s_delay_alu instid0(VALU_DEP_1) | instskip(NEXT) | instid1(VALU_DEP_1)
	v_dual_add_f32 v30, 1.0, v25 :: v_dual_add_nc_u32 v28, v26, v28
	v_mul_hi_u32 v26, 0xbc8f1391, v28
	s_delay_alu instid0(VALU_DEP_1) | instskip(NEXT) | instid1(VALU_DEP_1)
	v_lshrrev_b32_e32 v26, 15, v26
	v_mul_u32_u24_e32 v31, 0xd47, v26
	s_delay_alu instid0(VALU_DEP_1) | instskip(SKIP_3) | instid1(VALU_DEP_3)
	v_sub_nc_u32_e32 v32, 0, v31
	v_mul_u32_u24_e32 v29, 0xadc8, v26
	v_cvt_f32_u32_e32 v26, v24
	v_xor_b32_e32 v24, 0x7fffffff, v31
	v_dual_sub_nc_u32 v29, v28, v29 :: v_dual_add_nc_u32 v28, -1, v28
	s_delay_alu instid0(VALU_DEP_1) | instskip(NEXT) | instid1(VALU_DEP_2)
	v_mul_lo_u32 v29, 0xbc8f, v29
	v_cvt_f32_u32_e32 v28, v28
	s_delay_alu instid0(VALU_DEP_2) | instskip(SKIP_1) | instid1(VALU_DEP_1)
	v_cmp_lt_u32_e32 vcc_lo, v29, v31
	v_dual_cndmask_b32 v24, v32, v24 :: v_dual_add_nc_u32 v27, -1, v27
	v_cvt_f32_u32_e32 v27, v27
	s_delay_alu instid0(VALU_DEP_2) | instskip(NEXT) | instid1(VALU_DEP_2)
	v_add_nc_u32_e32 v24, v24, v29
	v_pk_fma_f32 v[26:27], v[26:27], s[4:5], 0 op_sel_hi:[1,0,0]
	s_delay_alu instid0(VALU_DEP_1) | instskip(NEXT) | instid1(VALU_DEP_1)
	v_pk_mul_f32 v[26:27], v[26:27], v[26:27]
	v_dual_add_nc_u32 v29, -1, v24 :: v_dual_add_f32 v31, v26, v27
	s_delay_alu instid0(VALU_DEP_1) | instskip(NEXT) | instid1(VALU_DEP_2)
	v_cvt_f32_u32_e32 v29, v29
	v_cmp_gt_f32_e32 vcc_lo, 0xf800000, v31
	s_delay_alu instid0(VALU_DEP_2) | instskip(SKIP_1) | instid1(SALU_CYCLE_1)
	v_pk_fma_f32 v[26:27], v[28:29], s[4:5], 0 op_sel_hi:[1,0,0]
	s_add_co_i32 s5, s5, -2
	s_cmp_lg_u32 s5, 0
	s_delay_alu instid0(VALU_DEP_1) | instskip(NEXT) | instid1(VALU_DEP_1)
	v_pk_mul_f32 v[26:27], v[26:27], v[26:27]
	v_add_f32_e32 v26, v26, v27
	s_delay_alu instid0(VALU_DEP_1) | instskip(NEXT) | instid1(VALU_DEP_1)
	v_dual_mul_f32 v28, 0x4f800000, v31 :: v_dual_mul_f32 v29, 0x4f800000, v26
	v_cndmask_b32_e32 v28, v31, v28, vcc_lo
	v_cmp_gt_f32_e64 s2, 0xf800000, v26
	s_delay_alu instid0(VALU_DEP_2) | instskip(SKIP_1) | instid1(TRANS32_DEP_1)
	v_sqrt_f32_e32 v27, v28
	v_nop
	v_dual_add_nc_u32 v31, -1, v27 :: v_dual_cndmask_b32 v26, v26, v29, s2
	s_delay_alu instid0(VALU_DEP_1) | instskip(NEXT) | instid1(VALU_DEP_2)
	v_dual_add_nc_u32 v29, 1, v27 :: v_dual_fma_f32 v32, -v31, v27, v28
	v_sqrt_f32_e32 v33, v26
	s_delay_alu instid0(VALU_DEP_1) | instskip(NEXT) | instid1(VALU_DEP_2)
	v_fma_f32 v34, -v29, v27, v28
	v_cmp_ge_f32_e64 s3, 0, v32
	s_delay_alu instid0(TRANS32_DEP_1) | instid1(VALU_DEP_1)
	v_dual_cndmask_b32 v27, v27, v31, s3 :: v_dual_add_nc_u32 v31, -1, v33
	s_delay_alu instid0(VALU_DEP_3) | instskip(NEXT) | instid1(VALU_DEP_1)
	v_cmp_lt_f32_e64 s3, 0, v34
	v_cndmask_b32_e64 v27, v27, v29, s3
	s_delay_alu instid0(VALU_DEP_3) | instskip(NEXT) | instid1(VALU_DEP_1)
	v_dual_add_nc_u32 v29, 1, v33 :: v_dual_fma_f32 v32, -v31, v33, v26
	v_fma_f32 v35, -v29, v33, v26
	s_delay_alu instid0(VALU_DEP_2) | instskip(NEXT) | instid1(VALU_DEP_1)
	v_cmp_ge_f32_e64 s3, 0, v32
	v_cndmask_b32_e64 v31, v33, v31, s3
	v_mul_f32_e32 v34, 0x37800000, v27
	s_delay_alu instid0(VALU_DEP_4) | instskip(NEXT) | instid1(VALU_DEP_1)
	v_cmp_lt_f32_e64 s3, 0, v35
	v_cndmask_b32_e64 v29, v31, v29, s3
	s_delay_alu instid0(VALU_DEP_3) | instskip(SKIP_1) | instid1(VALU_DEP_2)
	v_cndmask_b32_e32 v27, v27, v34, vcc_lo
	v_cmp_class_f32_e64 vcc_lo, v28, 0x260
	v_dual_cndmask_b32 v27, v27, v28 :: v_dual_mul_f32 v28, 0x37800000, v29
	s_delay_alu instid0(VALU_DEP_1) | instskip(NEXT) | instid1(VALU_DEP_2)
	v_cmp_nge_f32_e32 vcc_lo, 1.0, v27
	v_dual_cndmask_b32 v27, v29, v28, s2 :: v_dual_cndmask_b32 v25, v30, v25, vcc_lo
	v_cmp_class_f32_e64 vcc_lo, v26, 0x260
	s_delay_alu instid0(VALU_DEP_1) | instskip(NEXT) | instid1(VALU_DEP_1)
	v_dual_add_f32 v28, 1.0, v25 :: v_dual_cndmask_b32 v26, v27, v26, vcc_lo
	v_cmp_nge_f32_e32 vcc_lo, 1.0, v26
	s_delay_alu instid0(VALU_DEP_2)
	v_cndmask_b32_e32 v25, v28, v25, vcc_lo
	s_cbranch_scc1 .LBB27_50
; %bb.51:
	v_add_nc_u32_e32 v24, 0x80457416, v6
	s_movk_i32 s5, 0x2710
	s_brev_b32 s4, 12
	s_delay_alu instid0(VALU_DEP_1) | instskip(NEXT) | instid1(VALU_DEP_1)
	v_lshrrev_b32_e32 v26, 19, v24
	v_xor3_b32 v24, v24, v26, 0xc761c23c
	s_delay_alu instid0(VALU_DEP_1) | instskip(NEXT) | instid1(VALU_DEP_1)
	v_lshl_add_u32 v24, v24, 5, v24
	v_add_nc_u32_e32 v26, 0xe9f8cc1d, v24
	v_lshl_add_u32 v24, v24, 9, 0xaccf6200
	s_delay_alu instid0(VALU_DEP_1) | instskip(NEXT) | instid1(VALU_DEP_1)
	v_xor_b32_e32 v24, v26, v24
	v_lshlrev_b32_e32 v26, 3, v24
	s_delay_alu instid0(VALU_DEP_1) | instskip(NEXT) | instid1(VALU_DEP_1)
	v_add3_u32 v24, v24, v26, 0xfd7046c5
	v_lshrrev_b32_e32 v26, 16, v24
	s_delay_alu instid0(VALU_DEP_1) | instskip(NEXT) | instid1(VALU_DEP_1)
	v_xor3_b32 v24, v24, v26, 0xb55a4f09
	v_mul_hi_u32 v26, v24, 3
	s_delay_alu instid0(VALU_DEP_1) | instskip(NEXT) | instid1(VALU_DEP_1)
	v_sub_nc_u32_e32 v27, v24, v26
	v_lshrrev_b32_e32 v27, 1, v27
	s_delay_alu instid0(VALU_DEP_1) | instskip(NEXT) | instid1(VALU_DEP_1)
	v_dual_mov_b32 v27, 0 :: v_dual_add_nc_u32 v26, v27, v26
	v_lshrrev_b32_e32 v26, 30, v26
	s_delay_alu instid0(VALU_DEP_1) | instskip(NEXT) | instid1(VALU_DEP_1)
	v_mul_lo_u32 v26, 0x7fffffff, v26
	v_sub_nc_u32_e32 v24, v24, v26
	s_delay_alu instid0(VALU_DEP_1)
	v_max_u32_e32 v24, 1, v24
.LBB27_52:                              ; =>This Inner Loop Header: Depth=1
	s_delay_alu instid0(VALU_DEP_1) | instskip(NEXT) | instid1(VALU_DEP_1)
	v_mul_hi_u32 v26, 0xbc8f1391, v24
	v_lshrrev_b32_e32 v26, 15, v26
	s_delay_alu instid0(VALU_DEP_1) | instskip(NEXT) | instid1(VALU_DEP_1)
	v_mul_u32_u24_e32 v28, 0xadc8, v26
	v_sub_nc_u32_e32 v24, v24, v28
	v_mul_u32_u24_e32 v26, 0xd47, v26
	s_delay_alu instid0(VALU_DEP_2) | instskip(NEXT) | instid1(VALU_DEP_2)
	v_mul_lo_u32 v24, 0xbc8f, v24
	v_xor_b32_e32 v28, 0x7fffffff, v26
	v_sub_nc_u32_e32 v29, 0, v26
	s_delay_alu instid0(VALU_DEP_3) | instskip(NEXT) | instid1(VALU_DEP_2)
	v_cmp_lt_u32_e32 vcc_lo, v24, v26
	v_cndmask_b32_e32 v26, v29, v28, vcc_lo
	s_delay_alu instid0(VALU_DEP_1) | instskip(NEXT) | instid1(VALU_DEP_1)
	v_add_nc_u32_e32 v24, v26, v24
	v_mul_hi_u32 v26, 0xbc8f1391, v24
	s_delay_alu instid0(VALU_DEP_1) | instskip(NEXT) | instid1(VALU_DEP_1)
	v_lshrrev_b32_e32 v26, 15, v26
	v_mul_u32_u24_e32 v28, 0xadc8, v26
	v_mul_u32_u24_e32 v26, 0xd47, v26
	s_delay_alu instid0(VALU_DEP_2) | instskip(NEXT) | instid1(VALU_DEP_2)
	v_sub_nc_u32_e32 v28, v24, v28
	v_xor_b32_e32 v29, 0x7fffffff, v26
	s_delay_alu instid0(VALU_DEP_2) | instskip(SKIP_1) | instid1(VALU_DEP_2)
	v_mul_lo_u32 v28, 0xbc8f, v28
	v_sub_nc_u32_e32 v30, 0, v26
	v_cmp_lt_u32_e32 vcc_lo, v28, v26
	s_delay_alu instid0(VALU_DEP_2) | instskip(NEXT) | instid1(VALU_DEP_1)
	v_cndmask_b32_e32 v26, v30, v29, vcc_lo
	v_add_nc_u32_e32 v26, v26, v28
	s_delay_alu instid0(VALU_DEP_1) | instskip(NEXT) | instid1(VALU_DEP_1)
	v_mul_hi_u32 v28, 0xbc8f1391, v26
	v_lshrrev_b32_e32 v28, 15, v28
	s_delay_alu instid0(VALU_DEP_1) | instskip(SKIP_1) | instid1(VALU_DEP_1)
	v_mul_u32_u24_e32 v29, 0xadc8, v28
	v_mul_u32_u24_e32 v28, 0xd47, v28
	v_xor_b32_e32 v30, 0x7fffffff, v28
	s_delay_alu instid0(VALU_DEP_3) | instskip(NEXT) | instid1(VALU_DEP_1)
	v_dual_sub_nc_u32 v31, 0, v28 :: v_dual_sub_nc_u32 v29, v26, v29
	v_mul_lo_u32 v29, 0xbc8f, v29
	s_delay_alu instid0(VALU_DEP_1) | instskip(NEXT) | instid1(VALU_DEP_3)
	v_cmp_lt_u32_e32 vcc_lo, v29, v28
	v_cndmask_b32_e32 v28, v31, v30, vcc_lo
	s_delay_alu instid0(VALU_DEP_1) | instskip(NEXT) | instid1(VALU_DEP_1)
	v_add_nc_u32_e32 v30, v28, v29
	v_mul_hi_u32 v28, 0xbc8f1391, v30
	s_delay_alu instid0(VALU_DEP_1) | instskip(NEXT) | instid1(VALU_DEP_1)
	v_lshrrev_b32_e32 v28, 15, v28
	v_mul_u32_u24_e32 v29, 0xadc8, v28
	s_delay_alu instid0(VALU_DEP_1) | instskip(NEXT) | instid1(VALU_DEP_1)
	v_dual_add_f32 v32, 1.0, v27 :: v_dual_sub_nc_u32 v29, v30, v29
	v_mul_lo_u32 v31, 0xbc8f, v29
	v_mul_u32_u24_e32 v29, 0xd47, v28
	s_delay_alu instid0(VALU_DEP_1) | instskip(NEXT) | instid1(VALU_DEP_1)
	v_dual_add_nc_u32 v24, -1, v24 :: v_dual_sub_nc_u32 v33, 0, v29
	v_cvt_f32_u32_e32 v28, v24
	v_xor_b32_e32 v24, 0x7fffffff, v29
	v_cmp_lt_u32_e32 vcc_lo, v31, v29
	s_delay_alu instid0(VALU_DEP_2) | instskip(NEXT) | instid1(VALU_DEP_1)
	v_dual_add_nc_u32 v26, -1, v26 :: v_dual_cndmask_b32 v24, v33, v24, vcc_lo
	v_cvt_f32_u32_e32 v29, v26
	s_delay_alu instid0(VALU_DEP_2) | instskip(NEXT) | instid1(VALU_DEP_2)
	v_dual_add_nc_u32 v26, -1, v30 :: v_dual_add_nc_u32 v24, v24, v31
	v_pk_fma_f32 v[28:29], v[28:29], s[4:5], 0 op_sel_hi:[1,0,0]
	s_delay_alu instid0(VALU_DEP_2) | instskip(NEXT) | instid1(VALU_DEP_2)
	v_cvt_f32_u32_e32 v30, v26
	v_pk_mul_f32 v[28:29], v[28:29], v[28:29]
	s_delay_alu instid0(VALU_DEP_1) | instskip(NEXT) | instid1(VALU_DEP_1)
	v_dual_add_f32 v26, v28, v29 :: v_dual_add_nc_u32 v31, -1, v24
	v_cvt_f32_u32_e32 v31, v31
	s_delay_alu instid0(VALU_DEP_2) | instskip(NEXT) | instid1(VALU_DEP_2)
	v_cmp_gt_f32_e32 vcc_lo, 0xf800000, v26
	v_pk_fma_f32 v[28:29], v[30:31], s[4:5], 0 op_sel_hi:[1,0,0]
	v_mul_f32_e32 v30, 0x4f800000, v26
	s_add_co_i32 s5, s5, -2
	s_delay_alu instid0(SALU_CYCLE_1) | instskip(NEXT) | instid1(VALU_DEP_2)
	s_cmp_lg_u32 s5, 0
	v_pk_mul_f32 v[28:29], v[28:29], v[28:29]
	s_delay_alu instid0(VALU_DEP_1) | instskip(NEXT) | instid1(VALU_DEP_1)
	v_dual_cndmask_b32 v26, v26, v30, vcc_lo :: v_dual_add_f32 v28, v28, v29
	v_sqrt_f32_e32 v29, v26
	s_delay_alu instid0(VALU_DEP_1)
	v_mul_f32_e32 v30, 0x4f800000, v28
	v_cmp_gt_f32_e64 s2, 0xf800000, v28
	s_delay_alu instid0(TRANS32_DEP_1) | instid1(VALU_DEP_1)
	v_dual_add_nc_u32 v31, -1, v29 :: v_dual_cndmask_b32 v28, v28, v30, s2
	s_delay_alu instid0(VALU_DEP_1) | instskip(NEXT) | instid1(VALU_DEP_2)
	v_dual_add_nc_u32 v30, 1, v29 :: v_dual_fma_f32 v33, -v31, v29, v26
	v_sqrt_f32_e32 v34, v28
	s_delay_alu instid0(VALU_DEP_1) | instskip(NEXT) | instid1(VALU_DEP_2)
	v_fma_f32 v35, -v30, v29, v26
	v_cmp_ge_f32_e64 s3, 0, v33
	s_delay_alu instid0(VALU_DEP_1) | instskip(NEXT) | instid1(VALU_DEP_3)
	v_cndmask_b32_e64 v29, v29, v31, s3
	v_cmp_lt_f32_e64 s3, 0, v35
	s_delay_alu instid0(TRANS32_DEP_1) | instskip(NEXT) | instid1(VALU_DEP_2)
	v_add_nc_u32_e32 v31, -1, v34
	v_cndmask_b32_e64 v29, v29, v30, s3
	s_delay_alu instid0(VALU_DEP_2) | instskip(NEXT) | instid1(VALU_DEP_1)
	v_dual_add_nc_u32 v30, 1, v34 :: v_dual_fma_f32 v33, -v31, v34, v28
	v_fma_f32 v36, -v30, v34, v28
	s_delay_alu instid0(VALU_DEP_2) | instskip(NEXT) | instid1(VALU_DEP_1)
	v_cmp_ge_f32_e64 s3, 0, v33
	v_cndmask_b32_e64 v31, v34, v31, s3
	v_mul_f32_e32 v35, 0x37800000, v29
	s_delay_alu instid0(VALU_DEP_4) | instskip(NEXT) | instid1(VALU_DEP_1)
	v_cmp_lt_f32_e64 s3, 0, v36
	v_dual_cndmask_b32 v29, v29, v35, vcc_lo :: v_dual_cndmask_b32 v30, v31, v30, s3
	v_cmp_class_f32_e64 vcc_lo, v26, 0x260
	s_delay_alu instid0(VALU_DEP_2) | instskip(NEXT) | instid1(VALU_DEP_1)
	v_cndmask_b32_e32 v26, v29, v26, vcc_lo
	v_cmp_nge_f32_e32 vcc_lo, 1.0, v26
	s_delay_alu instid0(VALU_DEP_4) | instskip(NEXT) | instid1(VALU_DEP_1)
	v_dual_mul_f32 v29, 0x37800000, v30 :: v_dual_cndmask_b32 v26, v32, v27
	v_cndmask_b32_e64 v27, v30, v29, s2
	v_cmp_class_f32_e64 vcc_lo, v28, 0x260
	s_delay_alu instid0(VALU_DEP_1) | instskip(NEXT) | instid1(VALU_DEP_1)
	v_dual_add_f32 v29, 1.0, v26 :: v_dual_cndmask_b32 v27, v27, v28, vcc_lo
	v_cmp_nge_f32_e32 vcc_lo, 1.0, v27
	s_delay_alu instid0(VALU_DEP_2)
	v_cndmask_b32_e32 v27, v29, v26, vcc_lo
	s_cbranch_scc1 .LBB27_52
; %bb.53:
	v_add_nc_u32_e32 v24, 0x80557516, v6
	s_movk_i32 s5, 0x2710
	s_brev_b32 s4, 12
	s_delay_alu instid0(VALU_DEP_1) | instskip(NEXT) | instid1(VALU_DEP_1)
	v_dual_mov_b32 v30, 0 :: v_dual_lshrrev_b32 v26, 19, v24
	v_xor3_b32 v24, v24, v26, 0xc761c23c
	s_delay_alu instid0(VALU_DEP_1) | instskip(NEXT) | instid1(VALU_DEP_1)
	v_lshl_add_u32 v24, v24, 5, v24
	v_add_nc_u32_e32 v26, 0xe9f8cc1d, v24
	v_lshl_add_u32 v24, v24, 9, 0xaccf6200
	s_delay_alu instid0(VALU_DEP_1) | instskip(NEXT) | instid1(VALU_DEP_1)
	v_xor_b32_e32 v24, v26, v24
	v_lshlrev_b32_e32 v26, 3, v24
	s_delay_alu instid0(VALU_DEP_1) | instskip(NEXT) | instid1(VALU_DEP_1)
	v_add3_u32 v24, v24, v26, 0xfd7046c5
	v_lshrrev_b32_e32 v26, 16, v24
	s_delay_alu instid0(VALU_DEP_1) | instskip(NEXT) | instid1(VALU_DEP_1)
	v_xor3_b32 v24, v24, v26, 0xb55a4f09
	v_mul_hi_u32 v26, v24, 3
	s_delay_alu instid0(VALU_DEP_1) | instskip(NEXT) | instid1(VALU_DEP_1)
	v_sub_nc_u32_e32 v28, v24, v26
	v_lshrrev_b32_e32 v28, 1, v28
	s_delay_alu instid0(VALU_DEP_1) | instskip(NEXT) | instid1(VALU_DEP_1)
	v_add_nc_u32_e32 v26, v28, v26
	v_lshrrev_b32_e32 v26, 30, v26
	s_delay_alu instid0(VALU_DEP_1) | instskip(NEXT) | instid1(VALU_DEP_1)
	v_mul_lo_u32 v26, 0x7fffffff, v26
	v_sub_nc_u32_e32 v24, v24, v26
	s_delay_alu instid0(VALU_DEP_1)
	v_max_u32_e32 v24, 1, v24
.LBB27_54:                              ; =>This Inner Loop Header: Depth=1
	s_delay_alu instid0(VALU_DEP_1) | instskip(NEXT) | instid1(VALU_DEP_1)
	v_mul_hi_u32 v26, 0xbc8f1391, v24
	v_lshrrev_b32_e32 v26, 15, v26
	s_delay_alu instid0(VALU_DEP_1) | instskip(NEXT) | instid1(VALU_DEP_1)
	v_mul_u32_u24_e32 v28, 0xadc8, v26
	v_sub_nc_u32_e32 v24, v24, v28
	v_mul_u32_u24_e32 v26, 0xd47, v26
	s_delay_alu instid0(VALU_DEP_2) | instskip(NEXT) | instid1(VALU_DEP_2)
	v_mul_lo_u32 v24, 0xbc8f, v24
	v_xor_b32_e32 v28, 0x7fffffff, v26
	v_sub_nc_u32_e32 v29, 0, v26
	s_delay_alu instid0(VALU_DEP_3) | instskip(NEXT) | instid1(VALU_DEP_2)
	v_cmp_lt_u32_e32 vcc_lo, v24, v26
	v_cndmask_b32_e32 v26, v29, v28, vcc_lo
	s_delay_alu instid0(VALU_DEP_1) | instskip(NEXT) | instid1(VALU_DEP_1)
	v_add_nc_u32_e32 v24, v26, v24
	v_mul_hi_u32 v26, 0xbc8f1391, v24
	s_delay_alu instid0(VALU_DEP_1) | instskip(NEXT) | instid1(VALU_DEP_1)
	v_lshrrev_b32_e32 v26, 15, v26
	v_mul_u32_u24_e32 v28, 0xadc8, v26
	v_mul_u32_u24_e32 v26, 0xd47, v26
	s_delay_alu instid0(VALU_DEP_2) | instskip(NEXT) | instid1(VALU_DEP_2)
	v_sub_nc_u32_e32 v28, v24, v28
	v_xor_b32_e32 v29, 0x7fffffff, v26
	s_delay_alu instid0(VALU_DEP_2) | instskip(SKIP_1) | instid1(VALU_DEP_2)
	v_mul_lo_u32 v28, 0xbc8f, v28
	v_sub_nc_u32_e32 v31, 0, v26
	v_cmp_lt_u32_e32 vcc_lo, v28, v26
	s_delay_alu instid0(VALU_DEP_2) | instskip(NEXT) | instid1(VALU_DEP_1)
	v_cndmask_b32_e32 v26, v31, v29, vcc_lo
	v_add_nc_u32_e32 v26, v26, v28
	s_delay_alu instid0(VALU_DEP_1) | instskip(NEXT) | instid1(VALU_DEP_1)
	v_mul_hi_u32 v28, 0xbc8f1391, v26
	v_lshrrev_b32_e32 v28, 15, v28
	s_delay_alu instid0(VALU_DEP_1) | instskip(SKIP_1) | instid1(VALU_DEP_1)
	v_mul_u32_u24_e32 v29, 0xadc8, v28
	v_mul_u32_u24_e32 v28, 0xd47, v28
	v_xor_b32_e32 v31, 0x7fffffff, v28
	s_delay_alu instid0(VALU_DEP_3) | instskip(NEXT) | instid1(VALU_DEP_1)
	v_dual_sub_nc_u32 v32, 0, v28 :: v_dual_sub_nc_u32 v29, v26, v29
	v_mul_lo_u32 v29, 0xbc8f, v29
	s_delay_alu instid0(VALU_DEP_1) | instskip(NEXT) | instid1(VALU_DEP_3)
	v_cmp_lt_u32_e32 vcc_lo, v29, v28
	v_cndmask_b32_e32 v28, v32, v31, vcc_lo
	s_delay_alu instid0(VALU_DEP_1) | instskip(NEXT) | instid1(VALU_DEP_1)
	v_add_nc_u32_e32 v31, v28, v29
	v_mul_hi_u32 v28, 0xbc8f1391, v31
	s_delay_alu instid0(VALU_DEP_1) | instskip(NEXT) | instid1(VALU_DEP_1)
	v_lshrrev_b32_e32 v28, 15, v28
	v_mul_u32_u24_e32 v29, 0xadc8, v28
	s_delay_alu instid0(VALU_DEP_1) | instskip(NEXT) | instid1(VALU_DEP_1)
	v_dual_add_f32 v34, 1.0, v30 :: v_dual_sub_nc_u32 v29, v31, v29
	v_mul_lo_u32 v32, 0xbc8f, v29
	v_mul_u32_u24_e32 v29, 0xd47, v28
	s_delay_alu instid0(VALU_DEP_1) | instskip(NEXT) | instid1(VALU_DEP_1)
	v_dual_add_nc_u32 v24, -1, v24 :: v_dual_sub_nc_u32 v33, 0, v29
	v_cvt_f32_u32_e32 v28, v24
	v_xor_b32_e32 v24, 0x7fffffff, v29
	v_cmp_lt_u32_e32 vcc_lo, v32, v29
	s_delay_alu instid0(VALU_DEP_2) | instskip(NEXT) | instid1(VALU_DEP_1)
	v_dual_add_nc_u32 v26, -1, v26 :: v_dual_cndmask_b32 v24, v33, v24, vcc_lo
	v_cvt_f32_u32_e32 v29, v26
	s_delay_alu instid0(VALU_DEP_2) | instskip(NEXT) | instid1(VALU_DEP_2)
	v_dual_add_nc_u32 v26, -1, v31 :: v_dual_add_nc_u32 v24, v24, v32
	v_pk_fma_f32 v[28:29], v[28:29], s[4:5], 0 op_sel_hi:[1,0,0]
	s_delay_alu instid0(VALU_DEP_2) | instskip(NEXT) | instid1(VALU_DEP_2)
	v_cvt_f32_u32_e32 v32, v26
	v_pk_mul_f32 v[28:29], v[28:29], v[28:29]
	s_delay_alu instid0(VALU_DEP_1) | instskip(NEXT) | instid1(VALU_DEP_1)
	v_dual_add_f32 v26, v28, v29 :: v_dual_add_nc_u32 v31, -1, v24
	v_cvt_f32_u32_e32 v33, v31
	s_delay_alu instid0(VALU_DEP_2) | instskip(NEXT) | instid1(VALU_DEP_2)
	v_cmp_gt_f32_e32 vcc_lo, 0xf800000, v26
	v_pk_fma_f32 v[28:29], v[32:33], s[4:5], 0 op_sel_hi:[1,0,0]
	s_add_co_i32 s5, s5, -2
	s_delay_alu instid0(SALU_CYCLE_1) | instskip(NEXT) | instid1(VALU_DEP_1)
	s_cmp_lg_u32 s5, 0
	v_pk_mul_f32 v[28:29], v[28:29], v[28:29]
	s_delay_alu instid0(VALU_DEP_1) | instskip(NEXT) | instid1(VALU_DEP_1)
	v_dual_mul_f32 v31, 0x4f800000, v26 :: v_dual_add_f32 v28, v28, v29
	v_dual_cndmask_b32 v26, v26, v31 :: v_dual_mul_f32 v31, 0x4f800000, v28
	s_delay_alu instid0(VALU_DEP_1)
	v_sqrt_f32_e32 v29, v26
	v_cmp_gt_f32_e64 s2, 0xf800000, v28
	s_delay_alu instid0(TRANS32_DEP_1) | instid1(VALU_DEP_1)
	v_dual_cndmask_b32 v28, v28, v31, s2 :: v_dual_add_nc_u32 v32, -1, v29
	v_add_nc_u32_e32 v31, 1, v29
	s_delay_alu instid0(VALU_DEP_2) | instskip(NEXT) | instid1(VALU_DEP_2)
	v_sqrt_f32_e32 v35, v28
	v_fma_f32 v33, -v32, v29, v26
	s_delay_alu instid0(VALU_DEP_1) | instskip(NEXT) | instid1(VALU_DEP_1)
	v_cmp_ge_f32_e64 s3, 0, v33
	v_dual_fma_f32 v36, -v31, v29, v26 :: v_dual_cndmask_b32 v29, v29, v32, s3
	s_delay_alu instid0(VALU_DEP_1) | instskip(NEXT) | instid1(TRANS32_DEP_1)
	v_cmp_lt_f32_e64 s3, 0, v36
	v_add_nc_u32_e32 v32, -1, v35
	s_delay_alu instid0(VALU_DEP_2) | instskip(NEXT) | instid1(VALU_DEP_2)
	v_cndmask_b32_e64 v29, v29, v31, s3
	v_dual_add_nc_u32 v31, 1, v35 :: v_dual_fma_f32 v33, -v32, v35, v28
	s_delay_alu instid0(VALU_DEP_1) | instskip(NEXT) | instid1(VALU_DEP_2)
	v_fma_f32 v37, -v31, v35, v28
	v_cmp_ge_f32_e64 s3, 0, v33
	s_delay_alu instid0(VALU_DEP_1) | instskip(NEXT) | instid1(VALU_DEP_3)
	v_cndmask_b32_e64 v32, v35, v32, s3
	v_cmp_lt_f32_e64 s3, 0, v37
	s_delay_alu instid0(VALU_DEP_1) | instskip(SKIP_1) | instid1(VALU_DEP_1)
	v_cndmask_b32_e64 v31, v32, v31, s3
	v_mul_f32_e32 v36, 0x37800000, v29
	v_cndmask_b32_e32 v29, v29, v36, vcc_lo
	v_cmp_class_f32_e64 vcc_lo, v26, 0x260
	s_delay_alu instid0(VALU_DEP_2) | instskip(NEXT) | instid1(VALU_DEP_1)
	v_dual_cndmask_b32 v26, v29, v26 :: v_dual_mul_f32 v29, 0x37800000, v31
	v_cmp_nge_f32_e32 vcc_lo, 1.0, v26
	s_delay_alu instid0(VALU_DEP_2) | instskip(SKIP_1) | instid1(VALU_DEP_1)
	v_dual_cndmask_b32 v26, v34, v30, vcc_lo :: v_dual_cndmask_b32 v29, v31, v29, s2
	v_cmp_class_f32_e64 vcc_lo, v28, 0x260
	v_dual_add_f32 v30, 1.0, v26 :: v_dual_cndmask_b32 v28, v29, v28, vcc_lo
	s_delay_alu instid0(VALU_DEP_1) | instskip(NEXT) | instid1(VALU_DEP_2)
	v_cmp_nge_f32_e32 vcc_lo, 1.0, v28
	v_cndmask_b32_e32 v30, v30, v26, vcc_lo
	s_cbranch_scc1 .LBB27_54
; %bb.55:
	v_add_nc_u32_e32 v24, 0x80657616, v6
	s_movk_i32 s5, 0x2710
	s_brev_b32 s4, 12
	s_delay_alu instid0(VALU_DEP_1) | instskip(NEXT) | instid1(VALU_DEP_1)
	v_lshrrev_b32_e32 v26, 19, v24
	v_xor3_b32 v24, v24, v26, 0xc761c23c
	s_delay_alu instid0(VALU_DEP_1) | instskip(NEXT) | instid1(VALU_DEP_1)
	v_lshl_add_u32 v24, v24, 5, v24
	v_add_nc_u32_e32 v26, 0xe9f8cc1d, v24
	v_lshl_add_u32 v24, v24, 9, 0xaccf6200
	s_delay_alu instid0(VALU_DEP_1) | instskip(NEXT) | instid1(VALU_DEP_1)
	v_xor_b32_e32 v24, v26, v24
	v_lshlrev_b32_e32 v26, 3, v24
	s_delay_alu instid0(VALU_DEP_1) | instskip(NEXT) | instid1(VALU_DEP_1)
	v_add3_u32 v24, v24, v26, 0xfd7046c5
	v_lshrrev_b32_e32 v26, 16, v24
	s_delay_alu instid0(VALU_DEP_1) | instskip(NEXT) | instid1(VALU_DEP_1)
	v_xor3_b32 v24, v24, v26, 0xb55a4f09
	v_mul_hi_u32 v26, v24, 3
	s_delay_alu instid0(VALU_DEP_1) | instskip(NEXT) | instid1(VALU_DEP_1)
	v_sub_nc_u32_e32 v28, v24, v26
	v_lshrrev_b32_e32 v28, 1, v28
	s_delay_alu instid0(VALU_DEP_1) | instskip(NEXT) | instid1(VALU_DEP_1)
	v_add_nc_u32_e32 v26, v28, v26
	v_lshrrev_b32_e32 v26, 30, v26
	s_delay_alu instid0(VALU_DEP_1) | instskip(NEXT) | instid1(VALU_DEP_1)
	v_mul_lo_u32 v26, 0x7fffffff, v26
	v_sub_nc_u32_e32 v24, v24, v26
	s_delay_alu instid0(VALU_DEP_1)
	v_max_u32_e32 v26, 1, v24
	v_mov_b32_e32 v24, 0
.LBB27_56:                              ; =>This Inner Loop Header: Depth=1
	s_delay_alu instid0(VALU_DEP_2) | instskip(NEXT) | instid1(VALU_DEP_2)
	v_mul_hi_u32 v28, 0xbc8f1391, v26
	v_add_f32_e32 v34, 1.0, v24
	s_delay_alu instid0(VALU_DEP_2) | instskip(NEXT) | instid1(VALU_DEP_1)
	v_lshrrev_b32_e32 v28, 15, v28
	v_mul_u32_u24_e32 v29, 0xadc8, v28
	s_delay_alu instid0(VALU_DEP_1) | instskip(SKIP_1) | instid1(VALU_DEP_2)
	v_sub_nc_u32_e32 v26, v26, v29
	v_mul_u32_u24_e32 v28, 0xd47, v28
	v_mul_lo_u32 v26, 0xbc8f, v26
	s_delay_alu instid0(VALU_DEP_2) | instskip(SKIP_1) | instid1(VALU_DEP_3)
	v_xor_b32_e32 v29, 0x7fffffff, v28
	v_sub_nc_u32_e32 v31, 0, v28
	v_cmp_lt_u32_e32 vcc_lo, v26, v28
	s_delay_alu instid0(VALU_DEP_2) | instskip(NEXT) | instid1(VALU_DEP_1)
	v_cndmask_b32_e32 v28, v31, v29, vcc_lo
	v_add_nc_u32_e32 v26, v28, v26
	s_delay_alu instid0(VALU_DEP_1) | instskip(NEXT) | instid1(VALU_DEP_1)
	v_mul_hi_u32 v28, 0xbc8f1391, v26
	v_lshrrev_b32_e32 v28, 15, v28
	s_delay_alu instid0(VALU_DEP_1) | instskip(SKIP_1) | instid1(VALU_DEP_2)
	v_mul_u32_u24_e32 v29, 0xadc8, v28
	v_mul_u32_u24_e32 v28, 0xd47, v28
	v_sub_nc_u32_e32 v29, v26, v29
	s_delay_alu instid0(VALU_DEP_2) | instskip(SKIP_1) | instid1(VALU_DEP_3)
	v_xor_b32_e32 v31, 0x7fffffff, v28
	v_add_nc_u32_e32 v26, -1, v26
	v_mul_lo_u32 v29, 0xbc8f, v29
	v_sub_nc_u32_e32 v32, 0, v28
	s_delay_alu instid0(VALU_DEP_2) | instskip(NEXT) | instid1(VALU_DEP_2)
	v_cmp_lt_u32_e32 vcc_lo, v29, v28
	v_cndmask_b32_e32 v28, v32, v31, vcc_lo
	s_delay_alu instid0(VALU_DEP_1) | instskip(NEXT) | instid1(VALU_DEP_1)
	v_add_nc_u32_e32 v29, v28, v29
	v_mul_hi_u32 v28, 0xbc8f1391, v29
	s_delay_alu instid0(VALU_DEP_1) | instskip(NEXT) | instid1(VALU_DEP_1)
	v_lshrrev_b32_e32 v28, 15, v28
	v_mul_u32_u24_e32 v31, 0xadc8, v28
	v_mul_u32_u24_e32 v28, 0xd47, v28
	s_delay_alu instid0(VALU_DEP_2) | instskip(NEXT) | instid1(VALU_DEP_2)
	v_sub_nc_u32_e32 v31, v29, v31
	v_xor_b32_e32 v32, 0x7fffffff, v28
	s_delay_alu instid0(VALU_DEP_2) | instskip(SKIP_1) | instid1(VALU_DEP_2)
	v_mul_lo_u32 v31, 0xbc8f, v31
	v_sub_nc_u32_e32 v33, 0, v28
	v_cmp_lt_u32_e32 vcc_lo, v31, v28
	s_delay_alu instid0(VALU_DEP_2) | instskip(NEXT) | instid1(VALU_DEP_1)
	v_cndmask_b32_e32 v28, v33, v32, vcc_lo
	v_add_nc_u32_e32 v31, v28, v31
	s_delay_alu instid0(VALU_DEP_1) | instskip(NEXT) | instid1(VALU_DEP_1)
	v_mul_hi_u32 v28, 0xbc8f1391, v31
	v_lshrrev_b32_e32 v28, 15, v28
	s_delay_alu instid0(VALU_DEP_1) | instskip(NEXT) | instid1(VALU_DEP_1)
	v_mul_u32_u24_e32 v33, 0xd47, v28
	v_sub_nc_u32_e32 v35, 0, v33
	v_mul_u32_u24_e32 v32, 0xadc8, v28
	v_cvt_f32_u32_e32 v28, v26
	v_xor_b32_e32 v26, 0x7fffffff, v33
	s_delay_alu instid0(VALU_DEP_3) | instskip(NEXT) | instid1(VALU_DEP_1)
	v_dual_sub_nc_u32 v32, v31, v32 :: v_dual_add_nc_u32 v31, -1, v31
	v_mul_lo_u32 v32, 0xbc8f, v32
	s_delay_alu instid0(VALU_DEP_1) | instskip(NEXT) | instid1(VALU_DEP_4)
	v_cmp_lt_u32_e32 vcc_lo, v32, v33
	v_dual_cndmask_b32 v26, v35, v26 :: v_dual_add_nc_u32 v29, -1, v29
	s_delay_alu instid0(VALU_DEP_1) | instskip(NEXT) | instid1(VALU_DEP_2)
	v_cvt_f32_u32_e32 v29, v29
	v_add_nc_u32_e32 v26, v26, v32
	s_delay_alu instid0(VALU_DEP_2) | instskip(SKIP_1) | instid1(VALU_DEP_2)
	v_pk_fma_f32 v[28:29], v[28:29], s[4:5], 0 op_sel_hi:[1,0,0]
	v_cvt_f32_u32_e32 v32, v31
	v_pk_mul_f32 v[28:29], v[28:29], v[28:29]
	s_delay_alu instid0(VALU_DEP_1) | instskip(NEXT) | instid1(VALU_DEP_1)
	v_dual_add_nc_u32 v33, -1, v26 :: v_dual_add_f32 v31, v28, v29
	v_cvt_f32_u32_e32 v33, v33
	s_delay_alu instid0(VALU_DEP_2) | instskip(NEXT) | instid1(VALU_DEP_2)
	v_cmp_gt_f32_e32 vcc_lo, 0xf800000, v31
	v_pk_fma_f32 v[28:29], v[32:33], s[4:5], 0 op_sel_hi:[1,0,0]
	v_mul_f32_e32 v32, 0x4f800000, v31
	s_add_co_i32 s5, s5, -2
	s_delay_alu instid0(SALU_CYCLE_1) | instskip(NEXT) | instid1(VALU_DEP_2)
	s_cmp_lg_u32 s5, 0
	v_pk_mul_f32 v[28:29], v[28:29], v[28:29]
	s_delay_alu instid0(VALU_DEP_1) | instskip(NEXT) | instid1(VALU_DEP_1)
	v_dual_cndmask_b32 v31, v31, v32 :: v_dual_add_f32 v28, v28, v29
	v_sqrt_f32_e32 v29, v31
	s_delay_alu instid0(VALU_DEP_1)
	v_mul_f32_e32 v32, 0x4f800000, v28
	v_cmp_gt_f32_e64 s2, 0xf800000, v28
	s_delay_alu instid0(TRANS32_DEP_1) | instid1(VALU_DEP_1)
	v_dual_add_nc_u32 v33, -1, v29 :: v_dual_cndmask_b32 v28, v28, v32, s2
	s_delay_alu instid0(VALU_DEP_1) | instskip(NEXT) | instid1(VALU_DEP_2)
	v_dual_add_nc_u32 v32, 1, v29 :: v_dual_fma_f32 v35, -v33, v29, v31
	v_sqrt_f32_e32 v36, v28
	s_delay_alu instid0(VALU_DEP_1) | instskip(NEXT) | instid1(VALU_DEP_2)
	v_fma_f32 v37, -v32, v29, v31
	v_cmp_ge_f32_e64 s3, 0, v35
	s_delay_alu instid0(TRANS32_DEP_1) | instid1(VALU_DEP_1)
	v_dual_cndmask_b32 v29, v29, v33, s3 :: v_dual_add_nc_u32 v33, -1, v36
	s_delay_alu instid0(VALU_DEP_3) | instskip(NEXT) | instid1(VALU_DEP_2)
	v_cmp_lt_f32_e64 s3, 0, v37
	v_fma_f32 v35, -v33, v36, v28
	s_delay_alu instid0(VALU_DEP_2) | instskip(SKIP_1) | instid1(VALU_DEP_3)
	v_cndmask_b32_e64 v29, v29, v32, s3
	v_add_nc_u32_e32 v32, 1, v36
	v_cmp_ge_f32_e64 s3, 0, v35
	s_delay_alu instid0(VALU_DEP_1) | instskip(NEXT) | instid1(VALU_DEP_4)
	v_cndmask_b32_e64 v33, v36, v33, s3
	v_mul_f32_e32 v37, 0x37800000, v29
	s_delay_alu instid0(VALU_DEP_1) | instskip(SKIP_1) | instid1(VALU_DEP_1)
	v_cndmask_b32_e32 v29, v29, v37, vcc_lo
	v_cmp_class_f32_e64 vcc_lo, v31, 0x260
	v_dual_fma_f32 v38, -v32, v36, v28 :: v_dual_cndmask_b32 v29, v29, v31, vcc_lo
	s_delay_alu instid0(VALU_DEP_1) | instskip(NEXT) | instid1(VALU_DEP_2)
	v_cmp_lt_f32_e64 s3, 0, v38
	v_cmp_nge_f32_e32 vcc_lo, 1.0, v29
	s_delay_alu instid0(VALU_DEP_2) | instskip(SKIP_1) | instid1(VALU_DEP_2)
	v_cndmask_b32_e64 v32, v33, v32, s3
	v_cndmask_b32_e32 v24, v34, v24, vcc_lo
	v_mul_f32_e32 v31, 0x37800000, v32
	v_cmp_class_f32_e64 vcc_lo, v28, 0x260
	s_delay_alu instid0(VALU_DEP_2) | instskip(NEXT) | instid1(VALU_DEP_1)
	v_dual_cndmask_b32 v29, v32, v31, s2 :: v_dual_add_f32 v31, 1.0, v24
	v_cndmask_b32_e32 v28, v29, v28, vcc_lo
	s_delay_alu instid0(VALU_DEP_1) | instskip(NEXT) | instid1(VALU_DEP_3)
	v_cmp_nge_f32_e32 vcc_lo, 1.0, v28
	v_cndmask_b32_e32 v24, v31, v24, vcc_lo
	s_cbranch_scc1 .LBB27_56
; %bb.57:
	v_add_nc_u32_e32 v26, 0x80757716, v6
	s_movk_i32 s5, 0x2710
	s_brev_b32 s4, 12
	s_delay_alu instid0(VALU_DEP_1) | instskip(NEXT) | instid1(VALU_DEP_1)
	v_lshrrev_b32_e32 v28, 19, v26
	v_xor3_b32 v26, v26, v28, 0xc761c23c
	s_delay_alu instid0(VALU_DEP_1) | instskip(NEXT) | instid1(VALU_DEP_1)
	v_lshl_add_u32 v26, v26, 5, v26
	v_add_nc_u32_e32 v28, 0xe9f8cc1d, v26
	v_lshl_add_u32 v26, v26, 9, 0xaccf6200
	s_delay_alu instid0(VALU_DEP_1) | instskip(NEXT) | instid1(VALU_DEP_1)
	v_xor_b32_e32 v26, v28, v26
	v_lshlrev_b32_e32 v28, 3, v26
	s_delay_alu instid0(VALU_DEP_1) | instskip(NEXT) | instid1(VALU_DEP_1)
	v_add3_u32 v26, v26, v28, 0xfd7046c5
	v_lshrrev_b32_e32 v28, 16, v26
	s_delay_alu instid0(VALU_DEP_1) | instskip(NEXT) | instid1(VALU_DEP_1)
	v_xor3_b32 v26, v26, v28, 0xb55a4f09
	v_mul_hi_u32 v28, v26, 3
	s_delay_alu instid0(VALU_DEP_1) | instskip(NEXT) | instid1(VALU_DEP_1)
	v_sub_nc_u32_e32 v29, v26, v28
	v_lshrrev_b32_e32 v29, 1, v29
	s_delay_alu instid0(VALU_DEP_1) | instskip(NEXT) | instid1(VALU_DEP_1)
	v_add_nc_u32_e32 v28, v29, v28
	v_lshrrev_b32_e32 v28, 30, v28
	s_delay_alu instid0(VALU_DEP_1) | instskip(NEXT) | instid1(VALU_DEP_1)
	v_mul_lo_u32 v28, 0x7fffffff, v28
	v_sub_nc_u32_e32 v26, v26, v28
	s_delay_alu instid0(VALU_DEP_1)
	v_max_u32_e32 v28, 1, v26
	v_mov_b32_e32 v26, 0
.LBB27_58:                              ; =>This Inner Loop Header: Depth=1
	s_delay_alu instid0(VALU_DEP_2) | instskip(NEXT) | instid1(VALU_DEP_1)
	v_mul_hi_u32 v29, 0xbc8f1391, v28
	v_lshrrev_b32_e32 v29, 15, v29
	s_delay_alu instid0(VALU_DEP_1) | instskip(NEXT) | instid1(VALU_DEP_1)
	v_mul_u32_u24_e32 v31, 0xadc8, v29
	v_sub_nc_u32_e32 v28, v28, v31
	v_mul_u32_u24_e32 v29, 0xd47, v29
	s_delay_alu instid0(VALU_DEP_2) | instskip(NEXT) | instid1(VALU_DEP_2)
	v_mul_lo_u32 v28, 0xbc8f, v28
	v_xor_b32_e32 v31, 0x7fffffff, v29
	v_sub_nc_u32_e32 v32, 0, v29
	s_delay_alu instid0(VALU_DEP_3) | instskip(NEXT) | instid1(VALU_DEP_2)
	v_cmp_lt_u32_e32 vcc_lo, v28, v29
	v_cndmask_b32_e32 v29, v32, v31, vcc_lo
	s_delay_alu instid0(VALU_DEP_1) | instskip(NEXT) | instid1(VALU_DEP_1)
	v_add_nc_u32_e32 v28, v29, v28
	v_mul_hi_u32 v29, 0xbc8f1391, v28
	s_delay_alu instid0(VALU_DEP_1) | instskip(NEXT) | instid1(VALU_DEP_1)
	v_lshrrev_b32_e32 v29, 15, v29
	v_mul_u32_u24_e32 v31, 0xadc8, v29
	s_delay_alu instid0(VALU_DEP_1) | instskip(SKIP_1) | instid1(VALU_DEP_2)
	v_sub_nc_u32_e32 v31, v28, v31
	v_mul_u32_u24_e32 v29, 0xd47, v29
	v_mul_lo_u32 v31, 0xbc8f, v31
	s_delay_alu instid0(VALU_DEP_2) | instskip(SKIP_1) | instid1(VALU_DEP_3)
	v_xor_b32_e32 v32, 0x7fffffff, v29
	v_sub_nc_u32_e32 v33, 0, v29
	v_cmp_lt_u32_e32 vcc_lo, v31, v29
	s_delay_alu instid0(VALU_DEP_2) | instskip(NEXT) | instid1(VALU_DEP_1)
	v_cndmask_b32_e32 v29, v33, v32, vcc_lo
	v_add_nc_u32_e32 v29, v29, v31
	s_delay_alu instid0(VALU_DEP_1) | instskip(NEXT) | instid1(VALU_DEP_1)
	v_mul_hi_u32 v31, 0xbc8f1391, v29
	v_lshrrev_b32_e32 v31, 15, v31
	s_delay_alu instid0(VALU_DEP_1) | instskip(SKIP_1) | instid1(VALU_DEP_1)
	v_mul_u32_u24_e32 v32, 0xadc8, v31
	v_mul_u32_u24_e32 v31, 0xd47, v31
	v_xor_b32_e32 v33, 0x7fffffff, v31
	s_delay_alu instid0(VALU_DEP_3) | instskip(NEXT) | instid1(VALU_DEP_1)
	v_dual_sub_nc_u32 v34, 0, v31 :: v_dual_sub_nc_u32 v32, v29, v32
	v_mul_lo_u32 v32, 0xbc8f, v32
	s_delay_alu instid0(VALU_DEP_1) | instskip(NEXT) | instid1(VALU_DEP_3)
	v_cmp_lt_u32_e32 vcc_lo, v32, v31
	v_cndmask_b32_e32 v31, v34, v33, vcc_lo
	s_delay_alu instid0(VALU_DEP_1) | instskip(NEXT) | instid1(VALU_DEP_1)
	v_add_nc_u32_e32 v31, v31, v32
	v_mul_hi_u32 v32, 0xbc8f1391, v31
	s_delay_alu instid0(VALU_DEP_1) | instskip(NEXT) | instid1(VALU_DEP_1)
	v_lshrrev_b32_e32 v32, 15, v32
	v_mul_u32_u24_e32 v33, 0xadc8, v32
	s_delay_alu instid0(VALU_DEP_1) | instskip(NEXT) | instid1(VALU_DEP_1)
	v_dual_add_f32 v36, 1.0, v26 :: v_dual_sub_nc_u32 v33, v31, v33
	v_mul_lo_u32 v34, 0xbc8f, v33
	v_mul_u32_u24_e32 v33, 0xd47, v32
	s_delay_alu instid0(VALU_DEP_1) | instskip(NEXT) | instid1(VALU_DEP_1)
	v_dual_add_nc_u32 v28, -1, v28 :: v_dual_sub_nc_u32 v35, 0, v33
	v_cvt_f32_u32_e32 v32, v28
	v_xor_b32_e32 v28, 0x7fffffff, v33
	v_cmp_lt_u32_e32 vcc_lo, v34, v33
	s_delay_alu instid0(VALU_DEP_2) | instskip(NEXT) | instid1(VALU_DEP_1)
	v_dual_cndmask_b32 v28, v35, v28 :: v_dual_add_nc_u32 v29, -1, v29
	v_cvt_f32_u32_e32 v33, v29
	s_delay_alu instid0(VALU_DEP_2) | instskip(NEXT) | instid1(VALU_DEP_2)
	v_dual_add_nc_u32 v29, -1, v31 :: v_dual_add_nc_u32 v28, v28, v34
	v_pk_fma_f32 v[32:33], v[32:33], s[4:5], 0 op_sel_hi:[1,0,0]
	s_delay_alu instid0(VALU_DEP_2) | instskip(NEXT) | instid1(VALU_DEP_2)
	v_cvt_f32_u32_e32 v34, v29
	v_pk_mul_f32 v[32:33], v[32:33], v[32:33]
	s_delay_alu instid0(VALU_DEP_1) | instskip(NEXT) | instid1(VALU_DEP_1)
	v_dual_add_nc_u32 v31, -1, v28 :: v_dual_add_f32 v29, v32, v33
	v_cvt_f32_u32_e32 v35, v31
	s_delay_alu instid0(VALU_DEP_2) | instskip(NEXT) | instid1(VALU_DEP_2)
	v_mul_f32_e32 v31, 0x4f800000, v29
	v_pk_fma_f32 v[32:33], v[34:35], s[4:5], 0 op_sel_hi:[1,0,0]
	v_cmp_gt_f32_e32 vcc_lo, 0xf800000, v29
	s_add_co_i32 s5, s5, -2
	s_delay_alu instid0(SALU_CYCLE_1) | instskip(NEXT) | instid1(VALU_DEP_2)
	s_cmp_lg_u32 s5, 0
	v_pk_mul_f32 v[32:33], v[32:33], v[32:33]
	s_delay_alu instid0(VALU_DEP_1) | instskip(NEXT) | instid1(VALU_DEP_1)
	v_dual_cndmask_b32 v29, v29, v31, vcc_lo :: v_dual_add_f32 v31, v32, v33
	v_sqrt_f32_e32 v32, v29
	s_delay_alu instid0(VALU_DEP_1)
	v_mul_f32_e32 v33, 0x4f800000, v31
	v_cmp_gt_f32_e64 s2, 0xf800000, v31
	s_delay_alu instid0(TRANS32_DEP_1) | instid1(VALU_DEP_1)
	v_dual_add_nc_u32 v34, -1, v32 :: v_dual_cndmask_b32 v31, v31, v33, s2
	s_delay_alu instid0(VALU_DEP_1) | instskip(NEXT) | instid1(VALU_DEP_2)
	v_dual_add_nc_u32 v33, 1, v32 :: v_dual_fma_f32 v35, -v34, v32, v29
	v_sqrt_f32_e32 v37, v31
	s_delay_alu instid0(VALU_DEP_1) | instskip(NEXT) | instid1(VALU_DEP_2)
	v_fma_f32 v38, -v33, v32, v29
	v_cmp_ge_f32_e64 s3, 0, v35
	s_delay_alu instid0(VALU_DEP_1) | instskip(NEXT) | instid1(VALU_DEP_3)
	v_cndmask_b32_e64 v32, v32, v34, s3
	v_cmp_lt_f32_e64 s3, 0, v38
	s_delay_alu instid0(TRANS32_DEP_1) | instskip(NEXT) | instid1(VALU_DEP_2)
	v_add_nc_u32_e32 v34, -1, v37
	v_cndmask_b32_e64 v32, v32, v33, s3
	s_delay_alu instid0(VALU_DEP_2) | instskip(NEXT) | instid1(VALU_DEP_1)
	v_dual_add_nc_u32 v33, 1, v37 :: v_dual_fma_f32 v35, -v34, v37, v31
	v_fma_f32 v39, -v33, v37, v31
	s_delay_alu instid0(VALU_DEP_2) | instskip(NEXT) | instid1(VALU_DEP_1)
	v_cmp_ge_f32_e64 s3, 0, v35
	v_cndmask_b32_e64 v34, v37, v34, s3
	v_mul_f32_e32 v38, 0x37800000, v32
	s_delay_alu instid0(VALU_DEP_4) | instskip(NEXT) | instid1(VALU_DEP_1)
	v_cmp_lt_f32_e64 s3, 0, v39
	v_dual_cndmask_b32 v32, v32, v38, vcc_lo :: v_dual_cndmask_b32 v33, v34, v33, s3
	v_cmp_class_f32_e64 vcc_lo, v29, 0x260
	s_delay_alu instid0(VALU_DEP_2) | instskip(NEXT) | instid1(VALU_DEP_1)
	v_cndmask_b32_e32 v29, v32, v29, vcc_lo
	v_cmp_nge_f32_e32 vcc_lo, 1.0, v29
	v_cndmask_b32_e32 v26, v36, v26, vcc_lo
	v_cmp_class_f32_e64 vcc_lo, v31, 0x260
	v_mul_f32_e32 v32, 0x37800000, v33
	s_delay_alu instid0(VALU_DEP_1) | instskip(NEXT) | instid1(VALU_DEP_1)
	v_dual_cndmask_b32 v29, v33, v32, s2 :: v_dual_add_f32 v32, 1.0, v26
	v_cndmask_b32_e32 v29, v29, v31, vcc_lo
	s_delay_alu instid0(VALU_DEP_1) | instskip(NEXT) | instid1(VALU_DEP_3)
	v_cmp_nge_f32_e32 vcc_lo, 1.0, v29
	v_cndmask_b32_e32 v26, v32, v26, vcc_lo
	s_cbranch_scc1 .LBB27_58
; %bb.59:
	v_add_nc_u32_e32 v28, 0x80857816, v6
	s_movk_i32 s5, 0x2710
	s_brev_b32 s4, 12
	s_delay_alu instid0(VALU_DEP_1) | instskip(NEXT) | instid1(VALU_DEP_1)
	v_lshrrev_b32_e32 v29, 19, v28
	v_xor3_b32 v28, v28, v29, 0xc761c23c
	s_delay_alu instid0(VALU_DEP_1) | instskip(NEXT) | instid1(VALU_DEP_1)
	v_lshl_add_u32 v28, v28, 5, v28
	v_add_nc_u32_e32 v29, 0xe9f8cc1d, v28
	v_lshl_add_u32 v28, v28, 9, 0xaccf6200
	s_delay_alu instid0(VALU_DEP_1) | instskip(NEXT) | instid1(VALU_DEP_1)
	v_xor_b32_e32 v28, v29, v28
	v_lshlrev_b32_e32 v29, 3, v28
	s_delay_alu instid0(VALU_DEP_1) | instskip(NEXT) | instid1(VALU_DEP_1)
	v_add3_u32 v28, v28, v29, 0xfd7046c5
	v_lshrrev_b32_e32 v29, 16, v28
	s_delay_alu instid0(VALU_DEP_1) | instskip(NEXT) | instid1(VALU_DEP_1)
	v_xor3_b32 v28, v28, v29, 0xb55a4f09
	v_mul_hi_u32 v29, v28, 3
	s_delay_alu instid0(VALU_DEP_1) | instskip(NEXT) | instid1(VALU_DEP_1)
	v_sub_nc_u32_e32 v31, v28, v29
	v_lshrrev_b32_e32 v31, 1, v31
	s_delay_alu instid0(VALU_DEP_1) | instskip(NEXT) | instid1(VALU_DEP_1)
	v_add_nc_u32_e32 v29, v31, v29
	v_lshrrev_b32_e32 v29, 30, v29
	s_delay_alu instid0(VALU_DEP_1) | instskip(NEXT) | instid1(VALU_DEP_1)
	v_mul_lo_u32 v29, 0x7fffffff, v29
	v_sub_nc_u32_e32 v28, v28, v29
	s_delay_alu instid0(VALU_DEP_1)
	v_max_u32_e32 v29, 1, v28
	v_mov_b32_e32 v28, 0
.LBB27_60:                              ; =>This Inner Loop Header: Depth=1
	s_delay_alu instid0(VALU_DEP_2) | instskip(NEXT) | instid1(VALU_DEP_1)
	v_mul_hi_u32 v31, 0xbc8f1391, v29
	v_dual_add_f32 v36, 1.0, v28 :: v_dual_lshrrev_b32 v31, 15, v31
	s_delay_alu instid0(VALU_DEP_1) | instskip(NEXT) | instid1(VALU_DEP_1)
	v_mul_u32_u24_e32 v32, 0xadc8, v31
	v_sub_nc_u32_e32 v29, v29, v32
	v_mul_u32_u24_e32 v31, 0xd47, v31
	s_delay_alu instid0(VALU_DEP_2) | instskip(NEXT) | instid1(VALU_DEP_2)
	v_mul_lo_u32 v29, 0xbc8f, v29
	v_xor_b32_e32 v32, 0x7fffffff, v31
	v_sub_nc_u32_e32 v33, 0, v31
	s_delay_alu instid0(VALU_DEP_3) | instskip(NEXT) | instid1(VALU_DEP_2)
	v_cmp_lt_u32_e32 vcc_lo, v29, v31
	v_cndmask_b32_e32 v31, v33, v32, vcc_lo
	s_delay_alu instid0(VALU_DEP_1) | instskip(NEXT) | instid1(VALU_DEP_1)
	v_add_nc_u32_e32 v29, v31, v29
	v_mul_hi_u32 v31, 0xbc8f1391, v29
	s_delay_alu instid0(VALU_DEP_1) | instskip(NEXT) | instid1(VALU_DEP_1)
	v_lshrrev_b32_e32 v31, 15, v31
	v_mul_u32_u24_e32 v32, 0xadc8, v31
	s_delay_alu instid0(VALU_DEP_1) | instskip(SKIP_1) | instid1(VALU_DEP_2)
	v_sub_nc_u32_e32 v32, v29, v32
	v_mul_u32_u24_e32 v31, 0xd47, v31
	v_mul_lo_u32 v32, 0xbc8f, v32
	s_delay_alu instid0(VALU_DEP_2) | instskip(SKIP_1) | instid1(VALU_DEP_3)
	v_xor_b32_e32 v33, 0x7fffffff, v31
	v_sub_nc_u32_e32 v34, 0, v31
	v_cmp_lt_u32_e32 vcc_lo, v32, v31
	s_delay_alu instid0(VALU_DEP_2) | instskip(NEXT) | instid1(VALU_DEP_1)
	v_cndmask_b32_e32 v31, v34, v33, vcc_lo
	v_add_nc_u32_e32 v31, v31, v32
	s_delay_alu instid0(VALU_DEP_1) | instskip(NEXT) | instid1(VALU_DEP_1)
	v_mul_hi_u32 v32, 0xbc8f1391, v31
	v_lshrrev_b32_e32 v32, 15, v32
	s_delay_alu instid0(VALU_DEP_1) | instskip(SKIP_1) | instid1(VALU_DEP_2)
	v_mul_u32_u24_e32 v33, 0xadc8, v32
	v_mul_u32_u24_e32 v32, 0xd47, v32
	v_sub_nc_u32_e32 v33, v31, v33
	s_delay_alu instid0(VALU_DEP_2) | instskip(SKIP_1) | instid1(VALU_DEP_3)
	v_xor_b32_e32 v34, 0x7fffffff, v32
	v_dual_sub_nc_u32 v35, 0, v32 :: v_dual_add_nc_u32 v31, -1, v31
	v_mul_lo_u32 v33, 0xbc8f, v33
	s_delay_alu instid0(VALU_DEP_1) | instskip(NEXT) | instid1(VALU_DEP_3)
	v_cmp_lt_u32_e32 vcc_lo, v33, v32
	v_cndmask_b32_e32 v32, v35, v34, vcc_lo
	s_delay_alu instid0(VALU_DEP_1) | instskip(NEXT) | instid1(VALU_DEP_1)
	v_add_nc_u32_e32 v34, v32, v33
	v_mul_hi_u32 v32, 0xbc8f1391, v34
	s_delay_alu instid0(VALU_DEP_1) | instskip(NEXT) | instid1(VALU_DEP_1)
	v_lshrrev_b32_e32 v32, 15, v32
	v_mul_u32_u24_e32 v33, 0xadc8, v32
	s_delay_alu instid0(VALU_DEP_1) | instskip(NEXT) | instid1(VALU_DEP_1)
	v_sub_nc_u32_e32 v33, v34, v33
	v_mul_lo_u32 v35, 0xbc8f, v33
	v_mul_u32_u24_e32 v33, 0xd47, v32
	s_delay_alu instid0(VALU_DEP_1) | instskip(SKIP_1) | instid1(VALU_DEP_4)
	v_sub_nc_u32_e32 v37, 0, v33
	v_add_nc_u32_e32 v29, -1, v29
	v_cmp_lt_u32_e32 vcc_lo, v35, v33
	s_delay_alu instid0(VALU_DEP_2) | instskip(SKIP_3) | instid1(VALU_DEP_2)
	v_cvt_f32_u32_e32 v32, v29
	v_xor_b32_e32 v29, 0x7fffffff, v33
	v_cvt_f32_u32_e32 v33, v31
	v_add_nc_u32_e32 v31, -1, v34
	v_pk_fma_f32 v[32:33], v[32:33], s[4:5], 0 op_sel_hi:[1,0,0]
	s_delay_alu instid0(VALU_DEP_2) | instskip(NEXT) | instid1(VALU_DEP_2)
	v_cvt_f32_u32_e32 v34, v31
	v_pk_mul_f32 v[32:33], v[32:33], v[32:33]
	s_delay_alu instid0(VALU_DEP_1) | instskip(SKIP_1) | instid1(VALU_DEP_2)
	v_add_f32_e32 v31, v32, v33
	v_cndmask_b32_e32 v29, v37, v29, vcc_lo
	v_cmp_gt_f32_e32 vcc_lo, 0xf800000, v31
	s_delay_alu instid0(VALU_DEP_2) | instskip(NEXT) | instid1(VALU_DEP_1)
	v_add_nc_u32_e32 v29, v29, v35
	v_add_nc_u32_e32 v35, -1, v29
	s_delay_alu instid0(VALU_DEP_1) | instskip(NEXT) | instid1(VALU_DEP_1)
	v_cvt_f32_u32_e32 v35, v35
	v_pk_fma_f32 v[32:33], v[34:35], s[4:5], 0 op_sel_hi:[1,0,0]
	s_add_co_i32 s5, s5, -2
	s_delay_alu instid0(SALU_CYCLE_1) | instskip(NEXT) | instid1(VALU_DEP_1)
	s_cmp_lg_u32 s5, 0
	v_pk_mul_f32 v[32:33], v[32:33], v[32:33]
	s_delay_alu instid0(VALU_DEP_1) | instskip(SKIP_1) | instid1(VALU_DEP_2)
	v_add_f32_e32 v32, v32, v33
	v_mul_f32_e32 v34, 0x4f800000, v31
	v_cmp_gt_f32_e64 s2, 0xf800000, v32
	s_delay_alu instid0(VALU_DEP_2) | instskip(NEXT) | instid1(VALU_DEP_1)
	v_dual_cndmask_b32 v31, v31, v34 :: v_dual_mul_f32 v34, 0x4f800000, v32
	v_sqrt_f32_e32 v33, v31
	s_delay_alu instid0(VALU_DEP_1) | instskip(NEXT) | instid1(VALU_DEP_1)
	v_cndmask_b32_e64 v32, v32, v34, s2
	v_sqrt_f32_e32 v38, v32
	s_delay_alu instid0(TRANS32_DEP_2) | instskip(NEXT) | instid1(VALU_DEP_1)
	v_dual_add_nc_u32 v35, -1, v33 :: v_dual_add_nc_u32 v34, 1, v33
	v_fma_f32 v37, -v35, v33, v31
	s_delay_alu instid0(VALU_DEP_1) | instskip(NEXT) | instid1(VALU_DEP_1)
	v_cmp_ge_f32_e64 s3, 0, v37
	v_dual_fma_f32 v39, -v34, v33, v31 :: v_dual_cndmask_b32 v33, v33, v35, s3
	s_delay_alu instid0(VALU_DEP_1) | instskip(NEXT) | instid1(TRANS32_DEP_1)
	v_cmp_lt_f32_e64 s3, 0, v39
	v_add_nc_u32_e32 v35, -1, v38
	s_delay_alu instid0(VALU_DEP_2) | instskip(NEXT) | instid1(VALU_DEP_2)
	v_cndmask_b32_e64 v33, v33, v34, s3
	v_dual_add_nc_u32 v34, 1, v38 :: v_dual_fma_f32 v37, -v35, v38, v32
	s_delay_alu instid0(VALU_DEP_1) | instskip(NEXT) | instid1(VALU_DEP_2)
	v_fma_f32 v40, -v34, v38, v32
	v_cmp_ge_f32_e64 s3, 0, v37
	s_delay_alu instid0(VALU_DEP_1) | instskip(SKIP_1) | instid1(VALU_DEP_4)
	v_cndmask_b32_e64 v35, v38, v35, s3
	v_mul_f32_e32 v39, 0x37800000, v33
	v_cmp_lt_f32_e64 s3, 0, v40
	s_delay_alu instid0(VALU_DEP_1) | instskip(SKIP_1) | instid1(VALU_DEP_2)
	v_dual_cndmask_b32 v33, v33, v39, vcc_lo :: v_dual_cndmask_b32 v34, v35, v34, s3
	v_cmp_class_f32_e64 vcc_lo, v31, 0x260
	v_cndmask_b32_e32 v31, v33, v31, vcc_lo
	s_delay_alu instid0(VALU_DEP_3) | instskip(NEXT) | instid1(VALU_DEP_2)
	v_mul_f32_e32 v33, 0x37800000, v34
	v_cmp_nge_f32_e32 vcc_lo, 1.0, v31
	s_delay_alu instid0(VALU_DEP_2) | instskip(SKIP_1) | instid1(VALU_DEP_2)
	v_dual_cndmask_b32 v28, v36, v28, vcc_lo :: v_dual_cndmask_b32 v31, v34, v33, s2
	v_cmp_class_f32_e64 vcc_lo, v32, 0x260
	v_add_f32_e32 v33, 1.0, v28
	s_delay_alu instid0(VALU_DEP_3) | instskip(NEXT) | instid1(VALU_DEP_1)
	v_cndmask_b32_e32 v31, v31, v32, vcc_lo
	v_cmp_nge_f32_e32 vcc_lo, 1.0, v31
	s_delay_alu instid0(VALU_DEP_3)
	v_cndmask_b32_e32 v28, v33, v28, vcc_lo
	s_cbranch_scc1 .LBB27_60
; %bb.61:
	v_add_nc_u32_e32 v29, 0x80957916, v6
	s_movk_i32 s5, 0x2710
	s_brev_b32 s4, 12
	s_delay_alu instid0(VALU_DEP_1) | instskip(NEXT) | instid1(VALU_DEP_1)
	v_lshrrev_b32_e32 v31, 19, v29
	v_xor3_b32 v29, v29, v31, 0xc761c23c
	s_delay_alu instid0(VALU_DEP_1) | instskip(NEXT) | instid1(VALU_DEP_1)
	v_lshl_add_u32 v29, v29, 5, v29
	v_add_nc_u32_e32 v31, 0xe9f8cc1d, v29
	v_lshl_add_u32 v29, v29, 9, 0xaccf6200
	s_delay_alu instid0(VALU_DEP_1) | instskip(NEXT) | instid1(VALU_DEP_1)
	v_xor_b32_e32 v29, v31, v29
	v_lshlrev_b32_e32 v31, 3, v29
	s_delay_alu instid0(VALU_DEP_1) | instskip(NEXT) | instid1(VALU_DEP_1)
	v_add3_u32 v29, v29, v31, 0xfd7046c5
	v_lshrrev_b32_e32 v31, 16, v29
	s_delay_alu instid0(VALU_DEP_1) | instskip(NEXT) | instid1(VALU_DEP_1)
	v_xor3_b32 v29, v29, v31, 0xb55a4f09
	v_mul_hi_u32 v31, v29, 3
	s_delay_alu instid0(VALU_DEP_1) | instskip(NEXT) | instid1(VALU_DEP_1)
	v_sub_nc_u32_e32 v32, v29, v31
	v_lshrrev_b32_e32 v32, 1, v32
	s_delay_alu instid0(VALU_DEP_1) | instskip(NEXT) | instid1(VALU_DEP_1)
	v_add_nc_u32_e32 v31, v32, v31
	v_lshrrev_b32_e32 v31, 30, v31
	s_delay_alu instid0(VALU_DEP_1) | instskip(NEXT) | instid1(VALU_DEP_1)
	v_mul_lo_u32 v31, 0x7fffffff, v31
	v_sub_nc_u32_e32 v29, v29, v31
	s_delay_alu instid0(VALU_DEP_1)
	v_max_u32_e32 v31, 1, v29
	v_mov_b32_e32 v29, 0
.LBB27_62:                              ; =>This Inner Loop Header: Depth=1
	s_delay_alu instid0(VALU_DEP_2) | instskip(NEXT) | instid1(VALU_DEP_1)
	v_mul_hi_u32 v32, 0xbc8f1391, v31
	v_lshrrev_b32_e32 v32, 15, v32
	s_delay_alu instid0(VALU_DEP_1) | instskip(NEXT) | instid1(VALU_DEP_1)
	v_mul_u32_u24_e32 v33, 0xadc8, v32
	v_sub_nc_u32_e32 v31, v31, v33
	v_mul_u32_u24_e32 v32, 0xd47, v32
	s_delay_alu instid0(VALU_DEP_2) | instskip(NEXT) | instid1(VALU_DEP_2)
	v_mul_lo_u32 v31, 0xbc8f, v31
	v_xor_b32_e32 v33, 0x7fffffff, v32
	v_sub_nc_u32_e32 v34, 0, v32
	s_delay_alu instid0(VALU_DEP_3) | instskip(NEXT) | instid1(VALU_DEP_2)
	v_cmp_lt_u32_e32 vcc_lo, v31, v32
	v_cndmask_b32_e32 v32, v34, v33, vcc_lo
	s_delay_alu instid0(VALU_DEP_1) | instskip(NEXT) | instid1(VALU_DEP_1)
	v_add_nc_u32_e32 v31, v32, v31
	v_mul_hi_u32 v32, 0xbc8f1391, v31
	s_delay_alu instid0(VALU_DEP_1) | instskip(NEXT) | instid1(VALU_DEP_1)
	v_lshrrev_b32_e32 v32, 15, v32
	v_mul_u32_u24_e32 v33, 0xadc8, v32
	v_mul_u32_u24_e32 v32, 0xd47, v32
	s_delay_alu instid0(VALU_DEP_2) | instskip(NEXT) | instid1(VALU_DEP_2)
	v_sub_nc_u32_e32 v33, v31, v33
	v_xor_b32_e32 v34, 0x7fffffff, v32
	v_add_nc_u32_e32 v31, -1, v31
	s_delay_alu instid0(VALU_DEP_3) | instskip(SKIP_1) | instid1(VALU_DEP_2)
	v_mul_lo_u32 v33, 0xbc8f, v33
	v_sub_nc_u32_e32 v35, 0, v32
	v_cmp_lt_u32_e32 vcc_lo, v33, v32
	s_delay_alu instid0(VALU_DEP_2) | instskip(NEXT) | instid1(VALU_DEP_1)
	v_cndmask_b32_e32 v32, v35, v34, vcc_lo
	v_add_nc_u32_e32 v33, v32, v33
	s_delay_alu instid0(VALU_DEP_1) | instskip(NEXT) | instid1(VALU_DEP_1)
	v_mul_hi_u32 v32, 0xbc8f1391, v33
	v_lshrrev_b32_e32 v32, 15, v32
	s_delay_alu instid0(VALU_DEP_1) | instskip(SKIP_1) | instid1(VALU_DEP_2)
	v_mul_u32_u24_e32 v34, 0xadc8, v32
	v_mul_u32_u24_e32 v32, 0xd47, v32
	v_sub_nc_u32_e32 v34, v33, v34
	s_delay_alu instid0(VALU_DEP_2) | instskip(NEXT) | instid1(VALU_DEP_2)
	v_xor_b32_e32 v35, 0x7fffffff, v32
	v_mul_lo_u32 v34, 0xbc8f, v34
	v_sub_nc_u32_e32 v36, 0, v32
	s_delay_alu instid0(VALU_DEP_2) | instskip(NEXT) | instid1(VALU_DEP_2)
	v_cmp_lt_u32_e32 vcc_lo, v34, v32
	v_dual_cndmask_b32 v32, v36, v35, vcc_lo :: v_dual_add_f32 v36, 1.0, v29
	s_delay_alu instid0(VALU_DEP_1) | instskip(NEXT) | instid1(VALU_DEP_1)
	v_add_nc_u32_e32 v34, v32, v34
	v_mul_hi_u32 v32, 0xbc8f1391, v34
	s_delay_alu instid0(VALU_DEP_1) | instskip(NEXT) | instid1(VALU_DEP_1)
	v_lshrrev_b32_e32 v32, 15, v32
	v_mul_u32_u24_e32 v35, 0xadc8, v32
	v_mul_u32_u24_e32 v37, 0xd47, v32
	v_cvt_f32_u32_e32 v32, v31
	s_delay_alu instid0(VALU_DEP_3) | instskip(NEXT) | instid1(VALU_DEP_3)
	v_sub_nc_u32_e32 v35, v34, v35
	v_xor_b32_e32 v31, 0x7fffffff, v37
	v_dual_sub_nc_u32 v38, 0, v37 :: v_dual_add_nc_u32 v34, -1, v34
	s_delay_alu instid0(VALU_DEP_3) | instskip(NEXT) | instid1(VALU_DEP_2)
	v_mul_lo_u32 v35, 0xbc8f, v35
	v_cvt_f32_u32_e32 v34, v34
	s_delay_alu instid0(VALU_DEP_2) | instskip(NEXT) | instid1(VALU_DEP_4)
	v_cmp_lt_u32_e32 vcc_lo, v35, v37
	v_dual_add_nc_u32 v33, -1, v33 :: v_dual_cndmask_b32 v31, v38, v31, vcc_lo
	s_delay_alu instid0(VALU_DEP_1) | instskip(NEXT) | instid1(VALU_DEP_2)
	v_cvt_f32_u32_e32 v33, v33
	v_add_nc_u32_e32 v31, v31, v35
	s_delay_alu instid0(VALU_DEP_2) | instskip(NEXT) | instid1(VALU_DEP_1)
	v_pk_fma_f32 v[32:33], v[32:33], s[4:5], 0 op_sel_hi:[1,0,0]
	v_pk_mul_f32 v[32:33], v[32:33], v[32:33]
	s_delay_alu instid0(VALU_DEP_1) | instskip(NEXT) | instid1(VALU_DEP_1)
	v_dual_add_nc_u32 v35, -1, v31 :: v_dual_add_f32 v37, v32, v33
	v_cvt_f32_u32_e32 v35, v35
	s_delay_alu instid0(VALU_DEP_2) | instskip(NEXT) | instid1(VALU_DEP_2)
	v_cmp_gt_f32_e32 vcc_lo, 0xf800000, v37
	v_pk_fma_f32 v[32:33], v[34:35], s[4:5], 0 op_sel_hi:[1,0,0]
	s_add_co_i32 s5, s5, -2
	s_delay_alu instid0(SALU_CYCLE_1) | instskip(NEXT) | instid1(VALU_DEP_1)
	s_cmp_lg_u32 s5, 0
	v_pk_mul_f32 v[32:33], v[32:33], v[32:33]
	s_delay_alu instid0(VALU_DEP_1) | instskip(NEXT) | instid1(VALU_DEP_1)
	v_add_f32_e32 v32, v32, v33
	v_dual_mul_f32 v34, 0x4f800000, v37 :: v_dual_mul_f32 v35, 0x4f800000, v32
	s_delay_alu instid0(VALU_DEP_1) | instskip(SKIP_1) | instid1(VALU_DEP_2)
	v_cndmask_b32_e32 v34, v37, v34, vcc_lo
	v_cmp_gt_f32_e64 s2, 0xf800000, v32
	v_sqrt_f32_e32 v33, v34
	v_nop
	s_delay_alu instid0(TRANS32_DEP_1) | instskip(NEXT) | instid1(VALU_DEP_1)
	v_dual_add_nc_u32 v37, -1, v33 :: v_dual_cndmask_b32 v32, v32, v35, s2
	v_dual_add_nc_u32 v35, 1, v33 :: v_dual_fma_f32 v38, -v37, v33, v34
	s_delay_alu instid0(VALU_DEP_2) | instskip(NEXT) | instid1(VALU_DEP_1)
	v_sqrt_f32_e32 v39, v32
	v_fma_f32 v40, -v35, v33, v34
	s_delay_alu instid0(VALU_DEP_2)
	v_cmp_ge_f32_e64 s3, 0, v38
	s_delay_alu instid0(TRANS32_DEP_1) | instid1(VALU_DEP_1)
	v_dual_cndmask_b32 v33, v33, v37, s3 :: v_dual_add_nc_u32 v37, -1, v39
	s_delay_alu instid0(VALU_DEP_3) | instskip(NEXT) | instid1(VALU_DEP_1)
	v_cmp_lt_f32_e64 s3, 0, v40
	v_cndmask_b32_e64 v33, v33, v35, s3
	s_delay_alu instid0(VALU_DEP_3) | instskip(NEXT) | instid1(VALU_DEP_1)
	v_dual_add_nc_u32 v35, 1, v39 :: v_dual_fma_f32 v38, -v37, v39, v32
	v_fma_f32 v41, -v35, v39, v32
	s_delay_alu instid0(VALU_DEP_2) | instskip(NEXT) | instid1(VALU_DEP_1)
	v_cmp_ge_f32_e64 s3, 0, v38
	v_cndmask_b32_e64 v37, v39, v37, s3
	v_mul_f32_e32 v40, 0x37800000, v33
	s_delay_alu instid0(VALU_DEP_4) | instskip(NEXT) | instid1(VALU_DEP_1)
	v_cmp_lt_f32_e64 s3, 0, v41
	v_cndmask_b32_e64 v35, v37, v35, s3
	s_delay_alu instid0(VALU_DEP_3) | instskip(SKIP_1) | instid1(VALU_DEP_2)
	v_cndmask_b32_e32 v33, v33, v40, vcc_lo
	v_cmp_class_f32_e64 vcc_lo, v34, 0x260
	v_cndmask_b32_e32 v33, v33, v34, vcc_lo
	s_delay_alu instid0(VALU_DEP_1) | instskip(SKIP_2) | instid1(VALU_DEP_2)
	v_cmp_nge_f32_e32 vcc_lo, 1.0, v33
	v_dual_cndmask_b32 v29, v36, v29 :: v_dual_mul_f32 v34, 0x37800000, v35
	v_cmp_class_f32_e64 vcc_lo, v32, 0x260
	v_dual_cndmask_b32 v33, v35, v34, s2 :: v_dual_add_f32 v34, 1.0, v29
	s_delay_alu instid0(VALU_DEP_1) | instskip(NEXT) | instid1(VALU_DEP_1)
	v_cndmask_b32_e32 v32, v33, v32, vcc_lo
	v_cmp_nge_f32_e32 vcc_lo, 1.0, v32
	s_delay_alu instid0(VALU_DEP_3)
	v_cndmask_b32_e32 v29, v34, v29, vcc_lo
	s_cbranch_scc1 .LBB27_62
; %bb.63:
	v_add_nc_u32_e32 v31, 0x80a57a16, v6
	s_movk_i32 s5, 0x2710
	s_brev_b32 s4, 12
	s_delay_alu instid0(VALU_DEP_1) | instskip(NEXT) | instid1(VALU_DEP_1)
	v_lshrrev_b32_e32 v32, 19, v31
	v_xor3_b32 v31, v31, v32, 0xc761c23c
	s_delay_alu instid0(VALU_DEP_1) | instskip(NEXT) | instid1(VALU_DEP_1)
	v_lshl_add_u32 v31, v31, 5, v31
	v_add_nc_u32_e32 v32, 0xe9f8cc1d, v31
	v_lshl_add_u32 v31, v31, 9, 0xaccf6200
	s_delay_alu instid0(VALU_DEP_1) | instskip(NEXT) | instid1(VALU_DEP_1)
	v_xor_b32_e32 v31, v32, v31
	v_lshlrev_b32_e32 v32, 3, v31
	s_delay_alu instid0(VALU_DEP_1) | instskip(NEXT) | instid1(VALU_DEP_1)
	v_add3_u32 v31, v31, v32, 0xfd7046c5
	v_lshrrev_b32_e32 v32, 16, v31
	s_delay_alu instid0(VALU_DEP_1) | instskip(NEXT) | instid1(VALU_DEP_1)
	v_xor3_b32 v31, v31, v32, 0xb55a4f09
	v_mul_hi_u32 v32, v31, 3
	s_delay_alu instid0(VALU_DEP_1) | instskip(NEXT) | instid1(VALU_DEP_1)
	v_sub_nc_u32_e32 v33, v31, v32
	v_lshrrev_b32_e32 v33, 1, v33
	s_delay_alu instid0(VALU_DEP_1) | instskip(NEXT) | instid1(VALU_DEP_1)
	v_add_nc_u32_e32 v32, v33, v32
	v_lshrrev_b32_e32 v32, 30, v32
	s_delay_alu instid0(VALU_DEP_1) | instskip(NEXT) | instid1(VALU_DEP_1)
	v_mul_lo_u32 v32, 0x7fffffff, v32
	v_sub_nc_u32_e32 v31, v31, v32
	s_delay_alu instid0(VALU_DEP_1)
	v_max_u32_e32 v32, 1, v31
	v_mov_b32_e32 v31, 0
.LBB27_64:                              ; =>This Inner Loop Header: Depth=1
	s_delay_alu instid0(VALU_DEP_2) | instskip(NEXT) | instid1(VALU_DEP_1)
	v_mul_hi_u32 v33, 0xbc8f1391, v32
	v_dual_add_f32 v38, 1.0, v31 :: v_dual_lshrrev_b32 v33, 15, v33
	s_delay_alu instid0(VALU_DEP_1) | instskip(NEXT) | instid1(VALU_DEP_1)
	v_mul_u32_u24_e32 v34, 0xadc8, v33
	v_sub_nc_u32_e32 v32, v32, v34
	v_mul_u32_u24_e32 v33, 0xd47, v33
	s_delay_alu instid0(VALU_DEP_2) | instskip(NEXT) | instid1(VALU_DEP_2)
	v_mul_lo_u32 v32, 0xbc8f, v32
	v_xor_b32_e32 v34, 0x7fffffff, v33
	v_sub_nc_u32_e32 v35, 0, v33
	s_delay_alu instid0(VALU_DEP_3) | instskip(NEXT) | instid1(VALU_DEP_2)
	v_cmp_lt_u32_e32 vcc_lo, v32, v33
	v_cndmask_b32_e32 v33, v35, v34, vcc_lo
	s_delay_alu instid0(VALU_DEP_1) | instskip(NEXT) | instid1(VALU_DEP_1)
	v_add_nc_u32_e32 v32, v33, v32
	v_mul_hi_u32 v33, 0xbc8f1391, v32
	s_delay_alu instid0(VALU_DEP_1) | instskip(NEXT) | instid1(VALU_DEP_1)
	v_lshrrev_b32_e32 v33, 15, v33
	v_mul_u32_u24_e32 v34, 0xadc8, v33
	v_mul_u32_u24_e32 v33, 0xd47, v33
	s_delay_alu instid0(VALU_DEP_2) | instskip(NEXT) | instid1(VALU_DEP_2)
	v_sub_nc_u32_e32 v34, v32, v34
	v_xor_b32_e32 v35, 0x7fffffff, v33
	v_add_nc_u32_e32 v32, -1, v32
	s_delay_alu instid0(VALU_DEP_3) | instskip(SKIP_1) | instid1(VALU_DEP_2)
	v_mul_lo_u32 v34, 0xbc8f, v34
	v_sub_nc_u32_e32 v36, 0, v33
	v_cmp_lt_u32_e32 vcc_lo, v34, v33
	s_delay_alu instid0(VALU_DEP_2) | instskip(NEXT) | instid1(VALU_DEP_1)
	v_cndmask_b32_e32 v33, v36, v35, vcc_lo
	v_add_nc_u32_e32 v33, v33, v34
	s_delay_alu instid0(VALU_DEP_1) | instskip(NEXT) | instid1(VALU_DEP_1)
	v_mul_hi_u32 v34, 0xbc8f1391, v33
	v_lshrrev_b32_e32 v34, 15, v34
	s_delay_alu instid0(VALU_DEP_1) | instskip(SKIP_1) | instid1(VALU_DEP_2)
	v_mul_u32_u24_e32 v35, 0xadc8, v34
	v_mul_u32_u24_e32 v34, 0xd47, v34
	v_sub_nc_u32_e32 v35, v33, v35
	s_delay_alu instid0(VALU_DEP_2) | instskip(SKIP_1) | instid1(VALU_DEP_3)
	v_xor_b32_e32 v36, 0x7fffffff, v34
	v_dual_sub_nc_u32 v37, 0, v34 :: v_dual_add_nc_u32 v33, -1, v33
	v_mul_lo_u32 v35, 0xbc8f, v35
	s_delay_alu instid0(VALU_DEP_1) | instskip(NEXT) | instid1(VALU_DEP_3)
	v_cmp_lt_u32_e32 vcc_lo, v35, v34
	v_cndmask_b32_e32 v34, v37, v36, vcc_lo
	s_delay_alu instid0(VALU_DEP_1) | instskip(NEXT) | instid1(VALU_DEP_1)
	v_add_nc_u32_e32 v36, v34, v35
	v_mul_hi_u32 v34, 0xbc8f1391, v36
	s_delay_alu instid0(VALU_DEP_1) | instskip(NEXT) | instid1(VALU_DEP_1)
	v_lshrrev_b32_e32 v34, 15, v34
	v_mul_u32_u24_e32 v35, 0xadc8, v34
	s_delay_alu instid0(VALU_DEP_1) | instskip(NEXT) | instid1(VALU_DEP_1)
	v_sub_nc_u32_e32 v35, v36, v35
	v_mul_lo_u32 v37, 0xbc8f, v35
	v_mul_u32_u24_e32 v35, 0xd47, v34
	v_cvt_f32_u32_e32 v34, v32
	s_delay_alu instid0(VALU_DEP_2) | instskip(SKIP_4) | instid1(VALU_DEP_2)
	v_xor_b32_e32 v32, 0x7fffffff, v35
	v_sub_nc_u32_e32 v39, 0, v35
	v_cmp_lt_u32_e32 vcc_lo, v37, v35
	v_cvt_f32_u32_e32 v35, v33
	v_add_nc_u32_e32 v33, -1, v36
	v_pk_fma_f32 v[34:35], v[34:35], s[4:5], 0 op_sel_hi:[1,0,0]
	s_delay_alu instid0(VALU_DEP_2) | instskip(NEXT) | instid1(VALU_DEP_2)
	v_cvt_f32_u32_e32 v36, v33
	v_pk_mul_f32 v[34:35], v[34:35], v[34:35]
	s_delay_alu instid0(VALU_DEP_1) | instskip(NEXT) | instid1(VALU_DEP_1)
	v_dual_cndmask_b32 v32, v39, v32 :: v_dual_add_f32 v33, v34, v35
	v_add_nc_u32_e32 v32, v32, v37
	s_delay_alu instid0(VALU_DEP_2) | instskip(NEXT) | instid1(VALU_DEP_2)
	v_cmp_gt_f32_e32 vcc_lo, 0xf800000, v33
	v_add_nc_u32_e32 v37, -1, v32
	s_delay_alu instid0(VALU_DEP_1) | instskip(NEXT) | instid1(VALU_DEP_1)
	v_cvt_f32_u32_e32 v37, v37
	v_pk_fma_f32 v[34:35], v[36:37], s[4:5], 0 op_sel_hi:[1,0,0]
	v_mul_f32_e32 v36, 0x4f800000, v33
	s_add_co_i32 s5, s5, -2
	s_delay_alu instid0(SALU_CYCLE_1) | instskip(NEXT) | instid1(VALU_DEP_2)
	s_cmp_lg_u32 s5, 0
	v_pk_mul_f32 v[34:35], v[34:35], v[34:35]
	s_delay_alu instid0(VALU_DEP_1) | instskip(NEXT) | instid1(VALU_DEP_1)
	v_dual_add_f32 v34, v34, v35 :: v_dual_cndmask_b32 v33, v33, v36
	v_mul_f32_e32 v36, 0x4f800000, v34
	s_delay_alu instid0(VALU_DEP_2)
	v_sqrt_f32_e32 v35, v33
	v_cmp_gt_f32_e64 s2, 0xf800000, v34
	s_delay_alu instid0(TRANS32_DEP_1) | instid1(VALU_DEP_1)
	v_dual_cndmask_b32 v34, v34, v36, s2 :: v_dual_add_nc_u32 v37, -1, v35
	v_add_nc_u32_e32 v36, 1, v35
	s_delay_alu instid0(VALU_DEP_2) | instskip(NEXT) | instid1(VALU_DEP_2)
	v_sqrt_f32_e32 v40, v34
	v_fma_f32 v39, -v37, v35, v33
	s_delay_alu instid0(VALU_DEP_1) | instskip(NEXT) | instid1(VALU_DEP_1)
	v_cmp_ge_f32_e64 s3, 0, v39
	v_dual_fma_f32 v41, -v36, v35, v33 :: v_dual_cndmask_b32 v35, v35, v37, s3
	s_delay_alu instid0(VALU_DEP_1) | instskip(NEXT) | instid1(TRANS32_DEP_1)
	v_cmp_lt_f32_e64 s3, 0, v41
	v_add_nc_u32_e32 v37, -1, v40
	s_delay_alu instid0(VALU_DEP_2) | instskip(NEXT) | instid1(VALU_DEP_2)
	v_cndmask_b32_e64 v35, v35, v36, s3
	v_dual_add_nc_u32 v36, 1, v40 :: v_dual_fma_f32 v39, -v37, v40, v34
	s_delay_alu instid0(VALU_DEP_1) | instskip(NEXT) | instid1(VALU_DEP_2)
	v_fma_f32 v42, -v36, v40, v34
	v_cmp_ge_f32_e64 s3, 0, v39
	s_delay_alu instid0(VALU_DEP_1) | instskip(SKIP_1) | instid1(VALU_DEP_4)
	v_cndmask_b32_e64 v37, v40, v37, s3
	v_mul_f32_e32 v41, 0x37800000, v35
	v_cmp_lt_f32_e64 s3, 0, v42
	s_delay_alu instid0(VALU_DEP_1) | instskip(SKIP_1) | instid1(VALU_DEP_2)
	v_dual_cndmask_b32 v35, v35, v41, vcc_lo :: v_dual_cndmask_b32 v36, v37, v36, s3
	v_cmp_class_f32_e64 vcc_lo, v33, 0x260
	v_cndmask_b32_e32 v33, v35, v33, vcc_lo
	s_delay_alu instid0(VALU_DEP_3) | instskip(NEXT) | instid1(VALU_DEP_2)
	v_mul_f32_e32 v35, 0x37800000, v36
	v_cmp_nge_f32_e32 vcc_lo, 1.0, v33
	s_delay_alu instid0(VALU_DEP_2) | instskip(SKIP_2) | instid1(VALU_DEP_1)
	v_cndmask_b32_e64 v33, v36, v35, s2
	v_cndmask_b32_e32 v31, v38, v31, vcc_lo
	v_cmp_class_f32_e64 vcc_lo, v34, 0x260
	v_dual_add_f32 v35, 1.0, v31 :: v_dual_cndmask_b32 v33, v33, v34, vcc_lo
	s_delay_alu instid0(VALU_DEP_1) | instskip(NEXT) | instid1(VALU_DEP_2)
	v_cmp_nge_f32_e32 vcc_lo, 1.0, v33
	v_cndmask_b32_e32 v31, v35, v31, vcc_lo
	s_cbranch_scc1 .LBB27_64
; %bb.65:
	v_add_nc_u32_e32 v32, 0x80b57b16, v6
	s_movk_i32 s5, 0x2710
	s_brev_b32 s4, 12
	s_delay_alu instid0(VALU_DEP_1) | instskip(NEXT) | instid1(VALU_DEP_1)
	v_lshrrev_b32_e32 v33, 19, v32
	v_xor3_b32 v32, v32, v33, 0xc761c23c
	s_delay_alu instid0(VALU_DEP_1) | instskip(NEXT) | instid1(VALU_DEP_1)
	v_lshl_add_u32 v32, v32, 5, v32
	v_add_nc_u32_e32 v33, 0xe9f8cc1d, v32
	v_lshl_add_u32 v32, v32, 9, 0xaccf6200
	s_delay_alu instid0(VALU_DEP_1) | instskip(NEXT) | instid1(VALU_DEP_1)
	v_xor_b32_e32 v32, v33, v32
	v_lshlrev_b32_e32 v33, 3, v32
	s_delay_alu instid0(VALU_DEP_1) | instskip(NEXT) | instid1(VALU_DEP_1)
	v_add3_u32 v32, v32, v33, 0xfd7046c5
	v_lshrrev_b32_e32 v33, 16, v32
	s_delay_alu instid0(VALU_DEP_1) | instskip(NEXT) | instid1(VALU_DEP_1)
	v_xor3_b32 v32, v32, v33, 0xb55a4f09
	v_mul_hi_u32 v33, v32, 3
	s_delay_alu instid0(VALU_DEP_1) | instskip(NEXT) | instid1(VALU_DEP_1)
	v_sub_nc_u32_e32 v34, v32, v33
	v_lshrrev_b32_e32 v34, 1, v34
	s_delay_alu instid0(VALU_DEP_1) | instskip(NEXT) | instid1(VALU_DEP_1)
	v_add_nc_u32_e32 v33, v34, v33
	v_lshrrev_b32_e32 v33, 30, v33
	s_delay_alu instid0(VALU_DEP_1) | instskip(NEXT) | instid1(VALU_DEP_1)
	v_mul_lo_u32 v33, 0x7fffffff, v33
	v_sub_nc_u32_e32 v32, v32, v33
	s_delay_alu instid0(VALU_DEP_1)
	v_max_u32_e32 v33, 1, v32
	v_mov_b32_e32 v32, 0
.LBB27_66:                              ; =>This Inner Loop Header: Depth=1
	s_delay_alu instid0(VALU_DEP_2) | instskip(NEXT) | instid1(VALU_DEP_1)
	v_mul_hi_u32 v34, 0xbc8f1391, v33
	v_lshrrev_b32_e32 v34, 15, v34
	s_delay_alu instid0(VALU_DEP_1) | instskip(NEXT) | instid1(VALU_DEP_1)
	v_mul_u32_u24_e32 v35, 0xadc8, v34
	v_sub_nc_u32_e32 v33, v33, v35
	v_mul_u32_u24_e32 v34, 0xd47, v34
	s_delay_alu instid0(VALU_DEP_2) | instskip(NEXT) | instid1(VALU_DEP_2)
	v_mul_lo_u32 v33, 0xbc8f, v33
	v_xor_b32_e32 v35, 0x7fffffff, v34
	v_sub_nc_u32_e32 v36, 0, v34
	s_delay_alu instid0(VALU_DEP_3) | instskip(NEXT) | instid1(VALU_DEP_2)
	v_cmp_lt_u32_e32 vcc_lo, v33, v34
	v_cndmask_b32_e32 v34, v36, v35, vcc_lo
	s_delay_alu instid0(VALU_DEP_1) | instskip(NEXT) | instid1(VALU_DEP_1)
	v_add_nc_u32_e32 v33, v34, v33
	v_mul_hi_u32 v34, 0xbc8f1391, v33
	s_delay_alu instid0(VALU_DEP_1) | instskip(NEXT) | instid1(VALU_DEP_1)
	v_lshrrev_b32_e32 v34, 15, v34
	v_mul_u32_u24_e32 v35, 0xadc8, v34
	v_mul_u32_u24_e32 v34, 0xd47, v34
	s_delay_alu instid0(VALU_DEP_2) | instskip(NEXT) | instid1(VALU_DEP_2)
	v_sub_nc_u32_e32 v35, v33, v35
	v_xor_b32_e32 v36, 0x7fffffff, v34
	v_add_nc_u32_e32 v33, -1, v33
	s_delay_alu instid0(VALU_DEP_3) | instskip(SKIP_1) | instid1(VALU_DEP_2)
	v_mul_lo_u32 v35, 0xbc8f, v35
	v_sub_nc_u32_e32 v37, 0, v34
	v_cmp_lt_u32_e32 vcc_lo, v35, v34
	s_delay_alu instid0(VALU_DEP_2) | instskip(NEXT) | instid1(VALU_DEP_1)
	v_cndmask_b32_e32 v34, v37, v36, vcc_lo
	v_add_nc_u32_e32 v35, v34, v35
	s_delay_alu instid0(VALU_DEP_1) | instskip(NEXT) | instid1(VALU_DEP_1)
	v_mul_hi_u32 v34, 0xbc8f1391, v35
	v_lshrrev_b32_e32 v34, 15, v34
	s_delay_alu instid0(VALU_DEP_1) | instskip(SKIP_1) | instid1(VALU_DEP_2)
	v_mul_u32_u24_e32 v36, 0xadc8, v34
	v_mul_u32_u24_e32 v34, 0xd47, v34
	v_sub_nc_u32_e32 v36, v35, v36
	s_delay_alu instid0(VALU_DEP_2) | instskip(NEXT) | instid1(VALU_DEP_2)
	v_xor_b32_e32 v37, 0x7fffffff, v34
	v_mul_lo_u32 v36, 0xbc8f, v36
	v_sub_nc_u32_e32 v38, 0, v34
	s_delay_alu instid0(VALU_DEP_2) | instskip(NEXT) | instid1(VALU_DEP_2)
	v_cmp_lt_u32_e32 vcc_lo, v36, v34
	v_dual_cndmask_b32 v34, v38, v37, vcc_lo :: v_dual_add_f32 v38, 1.0, v32
	s_delay_alu instid0(VALU_DEP_1) | instskip(NEXT) | instid1(VALU_DEP_1)
	v_add_nc_u32_e32 v36, v34, v36
	v_mul_hi_u32 v34, 0xbc8f1391, v36
	s_delay_alu instid0(VALU_DEP_1) | instskip(NEXT) | instid1(VALU_DEP_1)
	v_lshrrev_b32_e32 v34, 15, v34
	v_mul_u32_u24_e32 v37, 0xadc8, v34
	v_mul_u32_u24_e32 v39, 0xd47, v34
	v_cvt_f32_u32_e32 v34, v33
	s_delay_alu instid0(VALU_DEP_3) | instskip(NEXT) | instid1(VALU_DEP_3)
	v_sub_nc_u32_e32 v37, v36, v37
	v_xor_b32_e32 v33, 0x7fffffff, v39
	v_dual_sub_nc_u32 v40, 0, v39 :: v_dual_add_nc_u32 v36, -1, v36
	s_delay_alu instid0(VALU_DEP_3) | instskip(NEXT) | instid1(VALU_DEP_2)
	v_mul_lo_u32 v37, 0xbc8f, v37
	v_cvt_f32_u32_e32 v36, v36
	s_delay_alu instid0(VALU_DEP_2) | instskip(NEXT) | instid1(VALU_DEP_4)
	v_cmp_lt_u32_e32 vcc_lo, v37, v39
	v_dual_add_nc_u32 v35, -1, v35 :: v_dual_cndmask_b32 v33, v40, v33, vcc_lo
	s_delay_alu instid0(VALU_DEP_1) | instskip(NEXT) | instid1(VALU_DEP_2)
	v_cvt_f32_u32_e32 v35, v35
	v_add_nc_u32_e32 v33, v33, v37
	s_delay_alu instid0(VALU_DEP_2) | instskip(NEXT) | instid1(VALU_DEP_1)
	v_pk_fma_f32 v[34:35], v[34:35], s[4:5], 0 op_sel_hi:[1,0,0]
	v_pk_mul_f32 v[34:35], v[34:35], v[34:35]
	s_delay_alu instid0(VALU_DEP_1) | instskip(NEXT) | instid1(VALU_DEP_1)
	v_dual_add_nc_u32 v37, -1, v33 :: v_dual_add_f32 v39, v34, v35
	v_cvt_f32_u32_e32 v37, v37
	s_delay_alu instid0(VALU_DEP_2) | instskip(NEXT) | instid1(VALU_DEP_2)
	v_cmp_gt_f32_e32 vcc_lo, 0xf800000, v39
	v_pk_fma_f32 v[34:35], v[36:37], s[4:5], 0 op_sel_hi:[1,0,0]
	s_add_co_i32 s5, s5, -2
	s_delay_alu instid0(SALU_CYCLE_1) | instskip(NEXT) | instid1(VALU_DEP_1)
	s_cmp_lg_u32 s5, 0
	v_pk_mul_f32 v[34:35], v[34:35], v[34:35]
	s_delay_alu instid0(VALU_DEP_1) | instskip(NEXT) | instid1(VALU_DEP_1)
	v_add_f32_e32 v34, v34, v35
	v_dual_mul_f32 v36, 0x4f800000, v39 :: v_dual_mul_f32 v37, 0x4f800000, v34
	s_delay_alu instid0(VALU_DEP_1) | instskip(SKIP_1) | instid1(VALU_DEP_2)
	v_cndmask_b32_e32 v36, v39, v36, vcc_lo
	v_cmp_gt_f32_e64 s2, 0xf800000, v34
	v_sqrt_f32_e32 v35, v36
	v_nop
	s_delay_alu instid0(TRANS32_DEP_1) | instskip(NEXT) | instid1(VALU_DEP_1)
	v_dual_add_nc_u32 v39, -1, v35 :: v_dual_cndmask_b32 v34, v34, v37, s2
	v_dual_add_nc_u32 v37, 1, v35 :: v_dual_fma_f32 v40, -v39, v35, v36
	s_delay_alu instid0(VALU_DEP_2) | instskip(NEXT) | instid1(VALU_DEP_1)
	v_sqrt_f32_e32 v41, v34
	v_fma_f32 v42, -v37, v35, v36
	s_delay_alu instid0(VALU_DEP_2)
	v_cmp_ge_f32_e64 s3, 0, v40
	s_delay_alu instid0(TRANS32_DEP_1) | instid1(VALU_DEP_1)
	v_dual_cndmask_b32 v35, v35, v39, s3 :: v_dual_add_nc_u32 v39, -1, v41
	s_delay_alu instid0(VALU_DEP_3) | instskip(NEXT) | instid1(VALU_DEP_1)
	v_cmp_lt_f32_e64 s3, 0, v42
	v_cndmask_b32_e64 v35, v35, v37, s3
	s_delay_alu instid0(VALU_DEP_3) | instskip(NEXT) | instid1(VALU_DEP_1)
	v_dual_add_nc_u32 v37, 1, v41 :: v_dual_fma_f32 v40, -v39, v41, v34
	v_fma_f32 v43, -v37, v41, v34
	s_delay_alu instid0(VALU_DEP_2) | instskip(NEXT) | instid1(VALU_DEP_1)
	v_cmp_ge_f32_e64 s3, 0, v40
	v_cndmask_b32_e64 v39, v41, v39, s3
	v_mul_f32_e32 v42, 0x37800000, v35
	s_delay_alu instid0(VALU_DEP_4) | instskip(NEXT) | instid1(VALU_DEP_1)
	v_cmp_lt_f32_e64 s3, 0, v43
	v_cndmask_b32_e64 v37, v39, v37, s3
	s_delay_alu instid0(VALU_DEP_3) | instskip(SKIP_1) | instid1(VALU_DEP_2)
	v_cndmask_b32_e32 v35, v35, v42, vcc_lo
	v_cmp_class_f32_e64 vcc_lo, v36, 0x260
	v_cndmask_b32_e32 v35, v35, v36, vcc_lo
	s_delay_alu instid0(VALU_DEP_1) | instskip(SKIP_3) | instid1(VALU_DEP_2)
	v_cmp_nge_f32_e32 vcc_lo, 1.0, v35
	v_cndmask_b32_e32 v32, v38, v32, vcc_lo
	v_mul_f32_e32 v36, 0x37800000, v37
	v_cmp_class_f32_e64 vcc_lo, v34, 0x260
	v_cndmask_b32_e64 v35, v37, v36, s2
	s_delay_alu instid0(VALU_DEP_1) | instskip(NEXT) | instid1(VALU_DEP_1)
	v_dual_add_f32 v36, 1.0, v32 :: v_dual_cndmask_b32 v34, v35, v34, vcc_lo
	v_cmp_nge_f32_e32 vcc_lo, 1.0, v34
	s_delay_alu instid0(VALU_DEP_2)
	v_cndmask_b32_e32 v32, v36, v32, vcc_lo
	s_cbranch_scc1 .LBB27_66
; %bb.67:
	v_add_nc_u32_e32 v6, 0x80c57c16, v6
	s_movk_i32 s5, 0x2710
	s_brev_b32 s4, 12
	s_delay_alu instid0(VALU_DEP_1) | instskip(NEXT) | instid1(VALU_DEP_1)
	v_lshrrev_b32_e32 v33, 19, v6
	v_xor3_b32 v6, v6, v33, 0xc761c23c
	s_delay_alu instid0(VALU_DEP_1) | instskip(NEXT) | instid1(VALU_DEP_1)
	v_lshl_add_u32 v6, v6, 5, v6
	v_add_nc_u32_e32 v33, 0xe9f8cc1d, v6
	v_lshl_add_u32 v6, v6, 9, 0xaccf6200
	s_delay_alu instid0(VALU_DEP_1) | instskip(NEXT) | instid1(VALU_DEP_1)
	v_xor_b32_e32 v6, v33, v6
	v_lshlrev_b32_e32 v33, 3, v6
	s_delay_alu instid0(VALU_DEP_1) | instskip(NEXT) | instid1(VALU_DEP_1)
	v_add3_u32 v6, v6, v33, 0xfd7046c5
	v_lshrrev_b32_e32 v33, 16, v6
	s_delay_alu instid0(VALU_DEP_1) | instskip(NEXT) | instid1(VALU_DEP_1)
	v_xor3_b32 v6, v6, v33, 0xb55a4f09
	v_mul_hi_u32 v33, v6, 3
	s_delay_alu instid0(VALU_DEP_1) | instskip(NEXT) | instid1(VALU_DEP_1)
	v_sub_nc_u32_e32 v34, v6, v33
	v_lshrrev_b32_e32 v34, 1, v34
	s_delay_alu instid0(VALU_DEP_1) | instskip(NEXT) | instid1(VALU_DEP_1)
	v_add_nc_u32_e32 v33, v34, v33
	v_lshrrev_b32_e32 v33, 30, v33
	s_delay_alu instid0(VALU_DEP_1) | instskip(NEXT) | instid1(VALU_DEP_1)
	v_mul_lo_u32 v33, 0x7fffffff, v33
	v_sub_nc_u32_e32 v6, v6, v33
	s_delay_alu instid0(VALU_DEP_1)
	v_max_u32_e32 v33, 1, v6
	v_mov_b32_e32 v6, 0
.LBB27_68:                              ; =>This Inner Loop Header: Depth=1
	s_delay_alu instid0(VALU_DEP_2) | instskip(NEXT) | instid1(VALU_DEP_1)
	v_mul_hi_u32 v34, 0xbc8f1391, v33
	v_lshrrev_b32_e32 v34, 15, v34
	s_delay_alu instid0(VALU_DEP_1) | instskip(NEXT) | instid1(VALU_DEP_1)
	v_mul_u32_u24_e32 v35, 0xadc8, v34
	v_sub_nc_u32_e32 v33, v33, v35
	v_mul_u32_u24_e32 v34, 0xd47, v34
	s_delay_alu instid0(VALU_DEP_2) | instskip(NEXT) | instid1(VALU_DEP_2)
	v_mul_lo_u32 v33, 0xbc8f, v33
	v_xor_b32_e32 v35, 0x7fffffff, v34
	v_sub_nc_u32_e32 v36, 0, v34
	s_delay_alu instid0(VALU_DEP_3) | instskip(NEXT) | instid1(VALU_DEP_2)
	v_cmp_lt_u32_e32 vcc_lo, v33, v34
	v_cndmask_b32_e32 v34, v36, v35, vcc_lo
	s_delay_alu instid0(VALU_DEP_1) | instskip(NEXT) | instid1(VALU_DEP_1)
	v_add_nc_u32_e32 v33, v34, v33
	v_mul_hi_u32 v34, 0xbc8f1391, v33
	s_delay_alu instid0(VALU_DEP_1) | instskip(NEXT) | instid1(VALU_DEP_1)
	v_lshrrev_b32_e32 v34, 15, v34
	v_mul_u32_u24_e32 v35, 0xadc8, v34
	v_mul_u32_u24_e32 v34, 0xd47, v34
	s_delay_alu instid0(VALU_DEP_2) | instskip(NEXT) | instid1(VALU_DEP_2)
	v_sub_nc_u32_e32 v35, v33, v35
	v_xor_b32_e32 v36, 0x7fffffff, v34
	v_add_nc_u32_e32 v33, -1, v33
	s_delay_alu instid0(VALU_DEP_3) | instskip(SKIP_1) | instid1(VALU_DEP_2)
	v_mul_lo_u32 v35, 0xbc8f, v35
	v_sub_nc_u32_e32 v37, 0, v34
	v_cmp_lt_u32_e32 vcc_lo, v35, v34
	s_delay_alu instid0(VALU_DEP_2) | instskip(NEXT) | instid1(VALU_DEP_1)
	v_cndmask_b32_e32 v34, v37, v36, vcc_lo
	v_add_nc_u32_e32 v35, v34, v35
	s_delay_alu instid0(VALU_DEP_1) | instskip(NEXT) | instid1(VALU_DEP_1)
	v_mul_hi_u32 v34, 0xbc8f1391, v35
	v_lshrrev_b32_e32 v34, 15, v34
	s_delay_alu instid0(VALU_DEP_1) | instskip(SKIP_1) | instid1(VALU_DEP_2)
	v_mul_u32_u24_e32 v36, 0xadc8, v34
	v_mul_u32_u24_e32 v34, 0xd47, v34
	v_sub_nc_u32_e32 v36, v35, v36
	s_delay_alu instid0(VALU_DEP_2) | instskip(NEXT) | instid1(VALU_DEP_2)
	v_xor_b32_e32 v37, 0x7fffffff, v34
	v_mul_lo_u32 v36, 0xbc8f, v36
	v_sub_nc_u32_e32 v38, 0, v34
	s_delay_alu instid0(VALU_DEP_2) | instskip(NEXT) | instid1(VALU_DEP_2)
	v_cmp_lt_u32_e32 vcc_lo, v36, v34
	v_dual_cndmask_b32 v34, v38, v37, vcc_lo :: v_dual_add_f32 v38, 1.0, v6
	s_delay_alu instid0(VALU_DEP_1) | instskip(NEXT) | instid1(VALU_DEP_1)
	v_add_nc_u32_e32 v36, v34, v36
	v_mul_hi_u32 v34, 0xbc8f1391, v36
	s_delay_alu instid0(VALU_DEP_1) | instskip(NEXT) | instid1(VALU_DEP_1)
	v_lshrrev_b32_e32 v34, 15, v34
	v_mul_u32_u24_e32 v37, 0xadc8, v34
	v_mul_u32_u24_e32 v39, 0xd47, v34
	v_cvt_f32_u32_e32 v34, v33
	s_delay_alu instid0(VALU_DEP_3) | instskip(NEXT) | instid1(VALU_DEP_3)
	v_sub_nc_u32_e32 v37, v36, v37
	v_xor_b32_e32 v33, 0x7fffffff, v39
	v_dual_sub_nc_u32 v40, 0, v39 :: v_dual_add_nc_u32 v36, -1, v36
	s_delay_alu instid0(VALU_DEP_3) | instskip(NEXT) | instid1(VALU_DEP_2)
	v_mul_lo_u32 v37, 0xbc8f, v37
	v_cvt_f32_u32_e32 v36, v36
	s_delay_alu instid0(VALU_DEP_2) | instskip(NEXT) | instid1(VALU_DEP_4)
	v_cmp_lt_u32_e32 vcc_lo, v37, v39
	v_dual_add_nc_u32 v35, -1, v35 :: v_dual_cndmask_b32 v33, v40, v33, vcc_lo
	s_delay_alu instid0(VALU_DEP_1) | instskip(NEXT) | instid1(VALU_DEP_2)
	v_cvt_f32_u32_e32 v35, v35
	v_add_nc_u32_e32 v33, v33, v37
	s_delay_alu instid0(VALU_DEP_2) | instskip(NEXT) | instid1(VALU_DEP_1)
	v_pk_fma_f32 v[34:35], v[34:35], s[4:5], 0 op_sel_hi:[1,0,0]
	v_pk_mul_f32 v[34:35], v[34:35], v[34:35]
	s_delay_alu instid0(VALU_DEP_1) | instskip(NEXT) | instid1(VALU_DEP_1)
	v_dual_add_nc_u32 v37, -1, v33 :: v_dual_add_f32 v39, v34, v35
	v_cvt_f32_u32_e32 v37, v37
	s_delay_alu instid0(VALU_DEP_2) | instskip(NEXT) | instid1(VALU_DEP_2)
	v_cmp_gt_f32_e32 vcc_lo, 0xf800000, v39
	v_pk_fma_f32 v[34:35], v[36:37], s[4:5], 0 op_sel_hi:[1,0,0]
	s_add_co_i32 s5, s5, -2
	s_delay_alu instid0(SALU_CYCLE_1) | instskip(NEXT) | instid1(VALU_DEP_1)
	s_cmp_lg_u32 s5, 0
	v_pk_mul_f32 v[34:35], v[34:35], v[34:35]
	s_delay_alu instid0(VALU_DEP_1) | instskip(NEXT) | instid1(VALU_DEP_1)
	v_add_f32_e32 v34, v34, v35
	v_dual_mul_f32 v36, 0x4f800000, v39 :: v_dual_mul_f32 v37, 0x4f800000, v34
	s_delay_alu instid0(VALU_DEP_1) | instskip(SKIP_1) | instid1(VALU_DEP_2)
	v_cndmask_b32_e32 v36, v39, v36, vcc_lo
	v_cmp_gt_f32_e64 s2, 0xf800000, v34
	v_sqrt_f32_e32 v35, v36
	v_nop
	s_delay_alu instid0(TRANS32_DEP_1) | instskip(NEXT) | instid1(VALU_DEP_1)
	v_dual_add_nc_u32 v39, -1, v35 :: v_dual_cndmask_b32 v34, v34, v37, s2
	v_dual_add_nc_u32 v37, 1, v35 :: v_dual_fma_f32 v40, -v39, v35, v36
	s_delay_alu instid0(VALU_DEP_2) | instskip(NEXT) | instid1(VALU_DEP_1)
	v_sqrt_f32_e32 v41, v34
	v_fma_f32 v42, -v37, v35, v36
	s_delay_alu instid0(VALU_DEP_2)
	v_cmp_ge_f32_e64 s3, 0, v40
	s_delay_alu instid0(TRANS32_DEP_1) | instid1(VALU_DEP_1)
	v_dual_cndmask_b32 v35, v35, v39, s3 :: v_dual_add_nc_u32 v39, -1, v41
	s_delay_alu instid0(VALU_DEP_3) | instskip(NEXT) | instid1(VALU_DEP_1)
	v_cmp_lt_f32_e64 s3, 0, v42
	v_cndmask_b32_e64 v35, v35, v37, s3
	s_delay_alu instid0(VALU_DEP_3) | instskip(NEXT) | instid1(VALU_DEP_1)
	v_dual_add_nc_u32 v37, 1, v41 :: v_dual_fma_f32 v40, -v39, v41, v34
	v_fma_f32 v43, -v37, v41, v34
	s_delay_alu instid0(VALU_DEP_2) | instskip(NEXT) | instid1(VALU_DEP_1)
	v_cmp_ge_f32_e64 s3, 0, v40
	v_cndmask_b32_e64 v39, v41, v39, s3
	v_mul_f32_e32 v42, 0x37800000, v35
	s_delay_alu instid0(VALU_DEP_4) | instskip(NEXT) | instid1(VALU_DEP_1)
	v_cmp_lt_f32_e64 s3, 0, v43
	v_cndmask_b32_e64 v37, v39, v37, s3
	s_delay_alu instid0(VALU_DEP_3) | instskip(SKIP_1) | instid1(VALU_DEP_2)
	v_cndmask_b32_e32 v35, v35, v42, vcc_lo
	v_cmp_class_f32_e64 vcc_lo, v36, 0x260
	v_cndmask_b32_e32 v35, v35, v36, vcc_lo
	s_delay_alu instid0(VALU_DEP_1) | instskip(SKIP_3) | instid1(VALU_DEP_2)
	v_cmp_nge_f32_e32 vcc_lo, 1.0, v35
	v_cndmask_b32_e32 v6, v38, v6, vcc_lo
	v_mul_f32_e32 v36, 0x37800000, v37
	v_cmp_class_f32_e64 vcc_lo, v34, 0x260
	v_dual_cndmask_b32 v35, v37, v36, s2 :: v_dual_add_f32 v36, 1.0, v6
	s_delay_alu instid0(VALU_DEP_1) | instskip(NEXT) | instid1(VALU_DEP_1)
	v_cndmask_b32_e32 v34, v35, v34, vcc_lo
	v_cmp_nge_f32_e32 vcc_lo, 1.0, v34
	s_delay_alu instid0(VALU_DEP_3)
	v_cndmask_b32_e32 v6, v36, v6, vcc_lo
	s_cbranch_scc1 .LBB27_68
; %bb.69:
	v_dual_mul_f32 v30, 4.0, v30 :: v_dual_mul_f32 v27, 4.0, v27
	v_dual_mul_f32 v25, 4.0, v25 :: v_dual_mul_f32 v23, 4.0, v23
	v_mul_f32_e32 v20, 4.0, v20
	s_delay_alu instid0(VALU_DEP_3) | instskip(NEXT) | instid1(VALU_DEP_4)
	v_div_scale_f32 v33, null, 0x461c4000, 0x461c4000, v30
	v_div_scale_f32 v34, null, 0x461c4000, 0x461c4000, v27
	v_div_scale_f32 v37, vcc_lo, v30, 0x461c4000, v30
	s_delay_alu instid0(VALU_DEP_3) | instskip(NEXT) | instid1(VALU_DEP_2)
	v_rcp_f32_e32 v35, v33
	v_rcp_f32_e32 v36, v34
	v_div_scale_f32 v41, null, 0x461c4000, 0x461c4000, v25
	v_div_scale_f32 v38, s2, v27, 0x461c4000, v27
	v_div_scale_f32 v42, null, 0x461c4000, 0x461c4000, v23
	s_delay_alu instid0(TRANS32_DEP_2) | instskip(NEXT) | instid1(TRANS32_DEP_1)
	v_fma_f32 v39, -v33, v35, 1.0
	v_fma_f32 v40, -v34, v36, 1.0
	v_div_scale_f32 v45, s3, v25, 0x461c4000, v25
	v_div_scale_f32 v51, null, 0x461c4000, 0x461c4000, v20
	s_delay_alu instid0(VALU_DEP_3) | instskip(SKIP_3) | instid1(VALU_DEP_2)
	v_dual_fmac_f32 v35, v39, v35 :: v_dual_fmac_f32 v36, v40, v36
	v_rcp_f32_e32 v39, v41
	v_mul_f32_e32 v22, 4.0, v22
	v_rcp_f32_e32 v40, v42
	v_dual_mul_f32 v43, v37, v35 :: v_dual_mul_f32 v44, v38, v36
	v_mul_f32_e32 v18, 4.0, v18
	s_delay_alu instid0(VALU_DEP_3) | instskip(NEXT) | instid1(VALU_DEP_3)
	v_div_scale_f32 v49, null, 0x461c4000, 0x461c4000, v22
	v_fma_f32 v47, -v33, v43, v37
	v_fma_f32 v46, -v41, v39, 1.0
	v_fma_f32 v48, -v34, v44, v38
	v_fma_f32 v50, -v42, v40, 1.0
	v_mul_f32_e32 v15, 4.0, v15
	v_fmac_f32_e32 v43, v47, v35
	s_delay_alu instid0(VALU_DEP_4) | instskip(NEXT) | instid1(VALU_DEP_4)
	v_dual_fmac_f32 v39, v46, v39 :: v_dual_fmac_f32 v44, v48, v36
	v_fmac_f32_e32 v40, v50, v40
	v_rcp_f32_e32 v46, v49
	s_delay_alu instid0(VALU_DEP_3) | instskip(NEXT) | instid1(VALU_DEP_3)
	v_fma_f32 v33, -v33, v43, v37
	v_dual_mul_f32 v47, v45, v39 :: v_dual_fma_f32 v34, -v34, v44, v38
	v_mul_f32_e32 v21, 4.0, v21
	v_div_scale_f32 v37, s4, v23, 0x461c4000, v23
	s_delay_alu instid0(VALU_DEP_4)
	v_div_fmas_f32 v33, v33, v35, v43
	s_mov_b32 vcc_lo, s2
	v_fma_f32 v35, -v49, v46, 1.0
	v_div_fmas_f32 v34, v34, v36, v44
	v_fma_f32 v36, -v41, v47, v45
	v_div_scale_f32 v38, null, 0x461c4000, 0x461c4000, v21
	s_delay_alu instid0(VALU_DEP_4) | instskip(NEXT) | instid1(VALU_DEP_3)
	v_dual_mul_f32 v44, v37, v40 :: v_dual_fmac_f32 v46, v35, v46
	v_fmac_f32_e32 v47, v36, v39
	s_delay_alu instid0(VALU_DEP_3) | instskip(SKIP_1) | instid1(VALU_DEP_3)
	v_rcp_f32_e32 v43, v38
	v_div_scale_f32 v35, s2, v22, 0x461c4000, v22
	v_fma_f32 v48, -v42, v44, v37
	s_mov_b32 vcc_lo, s3
	v_div_fixup_f32 v30, v33, 0x461c4000, v30
	s_delay_alu instid0(VALU_DEP_3) | instskip(NEXT) | instid1(TRANS32_DEP_1)
	v_mul_f32_e32 v50, v35, v46
	v_fma_f32 v36, -v38, v43, 1.0
	v_dual_fma_f32 v41, -v41, v47, v45 :: v_dual_fmac_f32 v44, v48, v40
	v_rcp_f32_e32 v45, v51
	v_div_fixup_f32 v27, v34, 0x461c4000, v27
	s_delay_alu instid0(VALU_DEP_3) | instskip(SKIP_3) | instid1(TRANS32_DEP_1)
	v_fmac_f32_e32 v43, v36, v43
	v_div_scale_f32 v36, s5, v21, 0x461c4000, v21
	v_div_fmas_f32 v39, v41, v39, v47
	v_fma_f32 v37, -v42, v44, v37
	v_fma_f32 v41, -v51, v45, 1.0
	v_dual_mul_f32 v19, 4.0, v19 :: v_dual_fma_f32 v48, -v49, v50, v35
	v_mul_f32_e32 v52, v36, v43
	s_mov_b32 vcc_lo, s4
	s_delay_alu instid0(VALU_DEP_3) | instskip(NEXT) | instid1(VALU_DEP_3)
	v_fmac_f32_e32 v45, v41, v45
	v_div_scale_f32 v47, null, 0x461c4000, 0x461c4000, v19
	s_delay_alu instid0(VALU_DEP_3) | instskip(SKIP_2) | instid1(VALU_DEP_4)
	v_dual_fmac_f32 v50, v48, v46 :: v_dual_fma_f32 v42, -v38, v52, v36
	v_div_scale_f32 v41, s3, v20, 0x461c4000, v20
	v_div_fmas_f32 v37, v37, v40, v44
	v_rcp_f32_e32 v40, v47
	s_delay_alu instid0(VALU_DEP_3) | instskip(NEXT) | instid1(VALU_DEP_3)
	v_dual_fma_f32 v35, -v49, v50, v35 :: v_dual_fmac_f32 v52, v42, v43
	v_mul_f32_e32 v42, v41, v45
	s_mov_b32 vcc_lo, s2
	v_div_fixup_f32 v23, v37, 0x461c4000, v23
	s_delay_alu instid0(VALU_DEP_3) | instskip(NEXT) | instid1(TRANS32_DEP_1)
	v_div_fmas_f32 v35, v35, v46, v50
	v_fma_f32 v46, -v47, v40, 1.0
	v_dual_fma_f32 v44, -v51, v42, v41 :: v_dual_fma_f32 v36, -v38, v52, v36
	v_div_scale_f32 v38, null, 0x461c4000, 0x461c4000, v18
	s_delay_alu instid0(VALU_DEP_2) | instskip(SKIP_1) | instid1(VALU_DEP_3)
	v_dual_fmac_f32 v40, v46, v40 :: v_dual_fmac_f32 v42, v44, v45
	v_div_scale_f32 v44, s2, v19, 0x461c4000, v19
	v_rcp_f32_e32 v46, v38
	s_mov_b32 vcc_lo, s5
	s_delay_alu instid0(VALU_DEP_2) | instskip(SKIP_3) | instid1(TRANS32_DEP_1)
	v_dual_mul_f32 v17, 4.0, v17 :: v_dual_fma_f32 v41, -v51, v42, v41
	v_div_fmas_f32 v36, v36, v43, v52
	v_mul_f32_e32 v43, v44, v40
	v_mul_f32_e32 v16, 4.0, v16
	v_fma_f32 v48, -v38, v46, 1.0
	v_div_scale_f32 v49, null, 0x461c4000, 0x461c4000, v17
	v_div_scale_f32 v53, null, 0x461c4000, 0x461c4000, v15
	s_mov_b32 vcc_lo, s3
	v_div_scale_f32 v50, s3, v18, 0x461c4000, v18
	v_div_fmas_f32 v41, v41, v45, v42
	v_dual_fma_f32 v42, -v47, v43, v44 :: v_dual_fmac_f32 v46, v48, v46
	v_rcp_f32_e32 v45, v49
	v_div_scale_f32 v48, null, 0x461c4000, 0x461c4000, v16
	v_rcp_f32_e32 v55, v53
	s_delay_alu instid0(VALU_DEP_2) | instskip(SKIP_1) | instid1(VALU_DEP_3)
	v_fmac_f32_e32 v43, v42, v40
	v_mul_f32_e32 v52, v50, v46
	v_rcp_f32_e32 v51, v48
	s_delay_alu instid0(TRANS32_DEP_3) | instskip(NEXT) | instid1(VALU_DEP_3)
	v_fma_f32 v42, -v49, v45, 1.0
	v_dual_mul_f32 v14, 4.0, v14 :: v_dual_fma_f32 v44, -v47, v43, v44
	s_delay_alu instid0(TRANS32_DEP_2) | instskip(SKIP_2) | instid1(TRANS32_DEP_1)
	v_fma_f32 v57, -v53, v55, 1.0
	v_fma_f32 v47, -v38, v52, v50
	s_mov_b32 vcc_lo, s2
	v_fma_f32 v54, -v48, v51, 1.0
	v_div_fmas_f32 v40, v44, v40, v43
	v_dual_fmac_f32 v55, v57, v55 :: v_dual_fmac_f32 v45, v42, v45
	v_fmac_f32_e32 v52, v47, v46
	v_div_scale_f32 v42, s4, v17, 0x461c4000, v17
	v_div_scale_f32 v47, s2, v15, 0x461c4000, v15
	s_delay_alu instid0(VALU_DEP_3) | instskip(NEXT) | instid1(VALU_DEP_3)
	v_fma_f32 v38, -v38, v52, v50
	v_mul_f32_e32 v56, v42, v45
	v_fmac_f32_e32 v51, v54, v51
	v_div_scale_f32 v54, s5, v16, 0x461c4000, v16
	s_delay_alu instid0(VALU_DEP_3) | instskip(SKIP_1) | instid1(VALU_DEP_3)
	v_dual_mul_f32 v50, v47, v55 :: v_dual_fma_f32 v43, -v49, v56, v42
	v_div_scale_f32 v57, null, 0x461c4000, 0x461c4000, v14
	v_dual_mul_f32 v44, v54, v51 :: v_dual_mul_f32 v13, 4.0, v13
	s_delay_alu instid0(VALU_DEP_3) | instskip(SKIP_2) | instid1(VALU_DEP_3)
	v_fmac_f32_e32 v56, v43, v45
	s_mov_b32 vcc_lo, s3
	v_mul_f32_e32 v12, 4.0, v12
	v_fma_f32 v43, -v48, v44, v54
	v_div_fmas_f32 v38, v38, v46, v52
	v_fma_f32 v42, -v49, v56, v42
	v_rcp_f32_e32 v46, v57
	s_mov_b32 vcc_lo, s4
	v_dual_fmac_f32 v44, v43, v51 :: v_dual_fma_f32 v43, -v53, v50, v47
	s_delay_alu instid0(VALU_DEP_2) | instskip(SKIP_2) | instid1(VALU_DEP_3)
	v_div_fmas_f32 v42, v42, v45, v56
	s_mov_b32 vcc_lo, s5
	v_div_scale_f32 v52, null, 0x461c4000, 0x461c4000, v12
	v_fma_f32 v48, -v48, v44, v54
	v_fmac_f32_e32 v50, v43, v55
	v_div_scale_f32 v43, null, 0x461c4000, 0x461c4000, v13
	v_fma_f32 v45, -v57, v46, 1.0
	s_delay_alu instid0(VALU_DEP_4) | instskip(NEXT) | instid1(VALU_DEP_4)
	v_div_fmas_f32 v44, v48, v51, v44
	v_dual_fma_f32 v47, -v53, v50, v47 :: v_dual_mul_f32 v11, 4.0, v11
	s_delay_alu instid0(VALU_DEP_4) | instskip(SKIP_2) | instid1(VALU_DEP_1)
	v_rcp_f32_e32 v49, v43
	s_mov_b32 vcc_lo, s2
	v_rcp_f32_e32 v53, v52
	v_div_fmas_f32 v47, v47, v55, v50
	v_mul_f32_e32 v10, 4.0, v10
	v_div_fixup_f32 v22, v35, 0x461c4000, v22
	v_div_fixup_f32 v16, v44, 0x461c4000, v16
	v_fma_f32 v51, -v43, v49, 1.0
	v_fmac_f32_e32 v46, v45, v46
	v_div_scale_f32 v45, s3, v14, 0x461c4000, v14
	v_fma_f32 v54, -v52, v53, 1.0
	s_delay_alu instid0(VALU_DEP_4) | instskip(SKIP_1) | instid1(VALU_DEP_3)
	v_fmac_f32_e32 v49, v51, v49
	v_div_scale_f32 v51, s2, v13, 0x461c4000, v13
	v_dual_mul_f32 v48, v45, v46 :: v_dual_fmac_f32 v53, v54, v53
	v_div_scale_f32 v54, s4, v12, 0x461c4000, v12
	s_delay_alu instid0(VALU_DEP_2) | instskip(SKIP_1) | instid1(VALU_DEP_3)
	v_dual_mul_f32 v55, v51, v49 :: v_dual_fma_f32 v50, -v57, v48, v45
	v_div_scale_f32 v59, null, 0x461c4000, 0x461c4000, v10
	v_mul_f32_e32 v58, v54, v53
	s_mov_b32 vcc_lo, s3
	s_delay_alu instid0(VALU_DEP_3) | instskip(SKIP_2) | instid1(VALU_DEP_3)
	v_fmac_f32_e32 v48, v50, v46
	v_div_scale_f32 v50, null, 0x461c4000, 0x461c4000, v11
	v_dual_mul_f32 v9, 4.0, v9 :: v_dual_mul_f32 v8, 4.0, v8
	v_fma_f32 v45, -v57, v48, v45
	s_delay_alu instid0(VALU_DEP_3)
	v_rcp_f32_e32 v56, v50
	v_fma_f32 v57, -v43, v55, v51
	v_div_fixup_f32 v17, v42, 0x461c4000, v17
	v_div_fixup_f32 v19, v40, 0x461c4000, v19
	v_div_fmas_f32 v45, v45, v46, v48
	v_rcp_f32_e32 v46, v59
	v_fma_f32 v48, -v52, v58, v54
	v_fma_f32 v60, -v50, v56, 1.0
	v_fmac_f32_e32 v55, v57, v49
	v_div_scale_f32 v57, s3, v11, 0x461c4000, v11
	s_delay_alu instid0(VALU_DEP_4) | instskip(NEXT) | instid1(VALU_DEP_4)
	v_fmac_f32_e32 v58, v48, v53
	v_fmac_f32_e32 v56, v60, v56
	v_fma_f32 v60, -v59, v46, 1.0
	v_fma_f32 v43, -v43, v55, v51
	s_mov_b32 vcc_lo, s2
	v_div_scale_f32 v51, s5, v10, 0x461c4000, v10
	s_delay_alu instid0(VALU_DEP_3) | instskip(SKIP_4) | instid1(VALU_DEP_3)
	v_dual_mul_f32 v48, v57, v56 :: v_dual_fmac_f32 v46, v60, v46
	v_div_scale_f32 v60, null, 0x461c4000, 0x461c4000, v9
	v_div_fmas_f32 v43, v43, v49, v55
	v_fma_f32 v49, -v52, v58, v54
	s_mov_b32 vcc_lo, s4
	v_rcp_f32_e32 v52, v60
	v_dual_fma_f32 v54, -v50, v48, v57 :: v_dual_mul_f32 v55, v51, v46
	s_delay_alu instid0(VALU_DEP_2) | instskip(SKIP_1) | instid1(VALU_DEP_3)
	v_div_fmas_f32 v49, v49, v53, v58
	v_div_scale_f32 v58, null, 0x461c4000, 0x461c4000, v8
	v_fmac_f32_e32 v48, v54, v56
	s_delay_alu instid0(TRANS32_DEP_1) | instskip(SKIP_3) | instid1(VALU_DEP_3)
	v_fma_f32 v53, -v60, v52, 1.0
	v_fma_f32 v54, -v59, v55, v51
	s_mov_b32 vcc_lo, s3
	v_dual_mul_f32 v7, 4.0, v7 :: v_dual_mul_f32 v5, 4.0, v5
	v_fmac_f32_e32 v52, v53, v52
	v_div_scale_f32 v53, s2, v9, 0x461c4000, v9
	v_fmac_f32_e32 v55, v54, v46
	v_div_fixup_f32 v12, v49, 0x461c4000, v12
	v_mul_f32_e32 v4, 4.0, v4
	s_delay_alu instid0(VALU_DEP_4) | instskip(NEXT) | instid1(VALU_DEP_4)
	v_mul_f32_e32 v54, v53, v52
	v_dual_fma_f32 v50, -v50, v48, v57 :: v_dual_fma_f32 v51, -v59, v55, v51
	v_rcp_f32_e32 v57, v58
	v_div_scale_f32 v59, null, 0x461c4000, 0x461c4000, v7
	s_delay_alu instid0(VALU_DEP_2) | instskip(SKIP_3) | instid1(TRANS32_DEP_1)
	v_div_fmas_f32 v48, v50, v56, v48
	v_fma_f32 v56, -v60, v54, v53
	s_mov_b32 vcc_lo, s5
	v_div_fixup_f32 v13, v43, 0x461c4000, v13
	v_fma_f32 v50, -v58, v57, 1.0
	v_div_fmas_f32 v46, v51, v46, v55
	v_rcp_f32_e32 v55, v59
	v_fmac_f32_e32 v54, v56, v52
	s_mov_b32 vcc_lo, s2
	v_fmac_f32_e32 v57, v50, v57
	v_div_scale_f32 v50, s3, v8, 0x461c4000, v8
	s_delay_alu instid0(VALU_DEP_3) | instskip(NEXT) | instid1(TRANS32_DEP_1)
	v_fma_f32 v53, -v60, v54, v53
	v_fma_f32 v60, -v59, v55, 1.0
	v_div_fixup_f32 v10, v46, 0x461c4000, v10
	s_delay_alu instid0(VALU_DEP_4)
	v_mul_f32_e32 v51, v50, v57
	v_div_fixup_f32 v14, v45, 0x461c4000, v14
	v_div_fmas_f32 v52, v53, v52, v54
	v_fmac_f32_e32 v55, v60, v55
	v_div_scale_f32 v60, null, 0x461c4000, 0x461c4000, v5
	v_fma_f32 v56, -v58, v51, v50
	s_mov_b32 vcc_lo, s3
	v_div_fixup_f32 v9, v52, 0x461c4000, v9
	s_delay_alu instid0(VALU_DEP_3)
	v_rcp_f32_e32 v53, v60
	v_div_fixup_f32 v21, v36, 0x461c4000, v21
	v_fmac_f32_e32 v51, v56, v57
	v_div_scale_f32 v56, s4, v7, 0x461c4000, v7
	v_div_fixup_f32 v25, v39, 0x461c4000, v25
	v_dual_mul_f32 v2, 4.0, v2 :: v_dual_mul_f32 v1, 4.0, v1
	s_delay_alu instid0(VALU_DEP_3) | instskip(SKIP_1) | instid1(VALU_DEP_1)
	v_mul_f32_e32 v54, v56, v55
	v_dual_fma_f32 v50, -v58, v51, v50 :: v_dual_mul_f32 v6, 4.0, v6
	v_div_fmas_f32 v50, v50, v57, v51
	s_delay_alu instid0(VALU_DEP_3) | instskip(SKIP_2) | instid1(VALU_DEP_3)
	v_fma_f32 v51, -v59, v54, v56
	v_fma_f32 v57, -v60, v53, 1.0
	s_mov_b32 vcc_lo, s4
	v_div_fixup_f32 v8, v50, 0x461c4000, v8
	s_delay_alu instid0(VALU_DEP_2) | instskip(SKIP_2) | instid1(VALU_DEP_3)
	v_dual_fmac_f32 v54, v51, v55 :: v_dual_fmac_f32 v53, v57, v53
	v_div_scale_f32 v51, null, 0x461c4000, 0x461c4000, v4
	v_div_scale_f32 v57, s2, v5, 0x461c4000, v5
	v_fma_f32 v56, -v59, v54, v56
	s_delay_alu instid0(VALU_DEP_3) | instskip(NEXT) | instid1(VALU_DEP_2)
	v_rcp_f32_e32 v58, v51
	v_mul_f32_e32 v59, v57, v53
	s_delay_alu instid0(VALU_DEP_2) | instskip(SKIP_1) | instid1(VALU_DEP_2)
	v_div_fmas_f32 v54, v56, v55, v54
	s_mov_b32 vcc_lo, s2
	v_fma_f32 v55, -v60, v59, v57
	s_delay_alu instid0(TRANS32_DEP_1) | instskip(NEXT) | instid1(VALU_DEP_3)
	v_fma_f32 v56, -v51, v58, 1.0
	v_div_fixup_f32 v7, v54, 0x461c4000, v7
	s_delay_alu instid0(VALU_DEP_2) | instskip(SKIP_2) | instid1(VALU_DEP_2)
	v_dual_fmac_f32 v59, v55, v53 :: v_dual_fmac_f32 v58, v56, v58
	v_div_scale_f32 v55, s3, v4, 0x461c4000, v4
	v_mul_f32_e32 v3, 4.0, v3
	v_dual_fma_f32 v56, -v60, v59, v57 :: v_dual_mul_f32 v60, v55, v58
	s_delay_alu instid0(VALU_DEP_2) | instskip(NEXT) | instid1(VALU_DEP_2)
	v_div_scale_f32 v57, null, 0x461c4000, 0x461c4000, v3
	v_div_fmas_f32 v53, v56, v53, v59
	s_delay_alu instid0(VALU_DEP_3) | instskip(SKIP_1) | instid1(VALU_DEP_3)
	v_fma_f32 v59, -v51, v60, v55
	s_mov_b32 vcc_lo, s3
	v_rcp_f32_e32 v56, v57
	s_delay_alu instid0(VALU_DEP_2) | instskip(NEXT) | instid1(VALU_DEP_2)
	v_div_fixup_f32 v5, v53, 0x461c4000, v5
	v_fmac_f32_e32 v60, v59, v58
	s_delay_alu instid0(TRANS32_DEP_1) | instskip(NEXT) | instid1(VALU_DEP_2)
	v_fma_f32 v59, -v57, v56, 1.0
	v_fma_f32 v51, -v51, v60, v55
	s_delay_alu instid0(VALU_DEP_2) | instskip(SKIP_1) | instid1(VALU_DEP_1)
	v_fmac_f32_e32 v56, v59, v56
	v_div_scale_f32 v59, s2, v3, 0x461c4000, v3
	v_mul_f32_e32 v55, v59, v56
	s_delay_alu instid0(VALU_DEP_4) | instskip(SKIP_4) | instid1(VALU_DEP_2)
	v_div_fmas_f32 v51, v51, v58, v60
	v_div_scale_f32 v60, null, 0x461c4000, 0x461c4000, v2
	s_mov_b32 vcc_lo, s2
	v_fma_f32 v58, -v57, v55, v59
	v_div_fixup_f32 v4, v51, 0x461c4000, v4
	v_fmac_f32_e32 v55, v58, v56
	v_rcp_f32_e32 v58, v60
	s_delay_alu instid0(VALU_DEP_1) | instskip(NEXT) | instid1(TRANS32_DEP_1)
	v_fma_f32 v57, -v57, v55, v59
	v_fma_f32 v59, -v60, v58, 1.0
	s_delay_alu instid0(VALU_DEP_1) | instskip(SKIP_1) | instid1(VALU_DEP_4)
	v_fmac_f32_e32 v58, v59, v58
	v_div_scale_f32 v59, s3, v2, 0x461c4000, v2
	v_div_fmas_f32 v55, v57, v56, v55
	s_mov_b32 vcc_lo, s3
	s_delay_alu instid0(VALU_DEP_2) | instskip(NEXT) | instid1(VALU_DEP_2)
	v_mul_f32_e32 v56, v59, v58
	v_div_fixup_f32 v3, v55, 0x461c4000, v3
	s_delay_alu instid0(VALU_DEP_2) | instskip(NEXT) | instid1(VALU_DEP_1)
	v_fma_f32 v57, -v60, v56, v59
	v_fmac_f32_e32 v56, v57, v58
	v_div_scale_f32 v57, null, 0x461c4000, 0x461c4000, v1
	s_delay_alu instid0(VALU_DEP_2) | instskip(NEXT) | instid1(VALU_DEP_2)
	v_fma_f32 v59, -v60, v56, v59
	v_rcp_f32_e32 v60, v57
	s_delay_alu instid0(VALU_DEP_1) | instskip(NEXT) | instid1(TRANS32_DEP_1)
	v_div_fmas_f32 v56, v59, v58, v56
	v_fma_f32 v58, -v57, v60, 1.0
	s_delay_alu instid0(VALU_DEP_2) | instskip(NEXT) | instid1(VALU_DEP_2)
	v_div_fixup_f32 v2, v56, 0x461c4000, v2
	v_fmac_f32_e32 v60, v58, v60
	v_div_scale_f32 v58, vcc_lo, v1, 0x461c4000, v1
	s_delay_alu instid0(VALU_DEP_1) | instskip(NEXT) | instid1(VALU_DEP_1)
	v_mul_f32_e32 v59, v58, v60
	v_fma_f32 v61, -v57, v59, v58
	s_delay_alu instid0(VALU_DEP_1) | instskip(NEXT) | instid1(VALU_DEP_1)
	v_fmac_f32_e32 v59, v61, v60
	v_fma_f32 v57, -v57, v59, v58
	s_delay_alu instid0(VALU_DEP_1) | instskip(NEXT) | instid1(VALU_DEP_1)
	v_div_fmas_f32 v57, v57, v60, v59
	v_div_fixup_f32 v1, v57, 0x461c4000, v1
	s_delay_alu instid0(VALU_DEP_1) | instskip(SKIP_1) | instid1(VALU_DEP_2)
	v_add_f32_e32 v1, v1, v2
	v_div_fixup_f32 v2, v41, 0x461c4000, v20
	v_dual_mul_f32 v20, 4.0, v24 :: v_dual_add_f32 v1, v1, v3
	s_delay_alu instid0(VALU_DEP_1) | instskip(NEXT) | instid1(VALU_DEP_2)
	v_div_scale_f32 v3, null, 0x461c4000, 0x461c4000, v20
	v_dual_add_f32 v1, v1, v4 :: v_dual_mul_f32 v4, 4.0, v26
	s_delay_alu instid0(VALU_DEP_2) | instskip(SKIP_1) | instid1(TRANS32_DEP_1)
	v_rcp_f32_e32 v24, v3
	v_nop
	v_fma_f32 v26, -v3, v24, 1.0
	s_delay_alu instid0(VALU_DEP_1) | instskip(SKIP_1) | instid1(VALU_DEP_2)
	v_dual_fmac_f32 v24, v26, v24 :: v_dual_add_f32 v1, v1, v5
	v_div_scale_f32 v5, null, 0x461c4000, 0x461c4000, v4
	v_dual_mul_f32 v26, 4.0, v28 :: v_dual_add_f32 v1, v1, v7
	s_delay_alu instid0(VALU_DEP_2) | instskip(NEXT) | instid1(VALU_DEP_1)
	v_rcp_f32_e32 v7, v5
	v_div_scale_f32 v33, null, 0x461c4000, 0x461c4000, v26
	s_delay_alu instid0(VALU_DEP_2) | instskip(SKIP_1) | instid1(TRANS32_DEP_1)
	v_add_f32_e32 v1, v1, v8
	v_div_scale_f32 v8, vcc_lo, v20, 0x461c4000, v20
	v_fma_f32 v28, -v5, v7, 1.0
	s_delay_alu instid0(VALU_DEP_3) | instskip(SKIP_1) | instid1(VALU_DEP_4)
	v_add_f32_e32 v1, v1, v9
	v_div_fixup_f32 v9, v48, 0x461c4000, v11
	v_mul_f32_e32 v11, v8, v24
	s_delay_alu instid0(VALU_DEP_4) | instskip(SKIP_1) | instid1(VALU_DEP_2)
	v_fmac_f32_e32 v7, v28, v7
	v_rcp_f32_e32 v28, v33
	v_fma_f32 v34, -v3, v11, v8
	s_delay_alu instid0(TRANS32_DEP_1) | instskip(NEXT) | instid1(VALU_DEP_2)
	v_fma_f32 v35, -v33, v28, 1.0
	v_dual_fmac_f32 v11, v34, v24 :: v_dual_add_f32 v1, v1, v10
	v_div_scale_f32 v10, s2, v4, 0x461c4000, v4
	s_delay_alu instid0(VALU_DEP_3) | instskip(SKIP_1) | instid1(VALU_DEP_4)
	v_fmac_f32_e32 v28, v35, v28
	v_div_scale_f32 v34, s3, v26, 0x461c4000, v26
	v_dual_add_f32 v1, v1, v9 :: v_dual_fma_f32 v3, -v3, v11, v8
	s_delay_alu instid0(VALU_DEP_4) | instskip(NEXT) | instid1(VALU_DEP_3)
	v_mul_f32_e32 v9, v10, v7
	v_mul_f32_e32 v8, v34, v28
	s_delay_alu instid0(VALU_DEP_3) | instskip(NEXT) | instid1(VALU_DEP_4)
	v_add_f32_e32 v1, v1, v12
	v_div_fmas_f32 v3, v3, v24, v11
	s_delay_alu instid0(VALU_DEP_4) | instskip(SKIP_2) | instid1(VALU_DEP_3)
	v_fma_f32 v12, -v5, v9, v10
	v_mul_f32_e32 v11, 4.0, v29
	s_mov_b32 vcc_lo, s2
	v_div_fixup_f32 v3, v3, 0x461c4000, v20
	s_delay_alu instid0(VALU_DEP_3) | instskip(NEXT) | instid1(VALU_DEP_3)
	v_fmac_f32_e32 v9, v12, v7
	v_div_scale_f32 v12, null, 0x461c4000, 0x461c4000, v11
	s_delay_alu instid0(VALU_DEP_2) | instskip(SKIP_3) | instid1(VALU_DEP_2)
	v_fma_f32 v5, -v5, v9, v10
	v_fma_f32 v10, -v33, v8, v34
	v_add_f32_e32 v1, v1, v13
	v_div_fixup_f32 v13, v47, 0x461c4000, v15
	v_dual_fmac_f32 v8, v10, v28 :: v_dual_add_f32 v1, v1, v14
	s_delay_alu instid0(VALU_DEP_1)
	v_dual_mul_f32 v14, 4.0, v32 :: v_dual_add_f32 v1, v1, v13
	v_mul_f32_e32 v13, 4.0, v31
	v_div_fmas_f32 v5, v5, v7, v9
	v_rcp_f32_e32 v7, v12
	s_mov_b32 vcc_lo, s3
	v_div_fixup_f32 v9, v38, 0x461c4000, v18
	v_div_scale_f32 v15, null, 0x461c4000, 0x461c4000, v14
	v_div_fixup_f32 v4, v5, 0x461c4000, v4
	v_fma_f32 v5, -v33, v8, v34
	s_delay_alu instid0(TRANS32_DEP_1) | instskip(NEXT) | instid1(VALU_DEP_4)
	v_fma_f32 v10, -v12, v7, 1.0
	v_rcp_f32_e32 v18, v15
	s_delay_alu instid0(VALU_DEP_2) | instskip(NEXT) | instid1(VALU_DEP_2)
	v_div_fmas_f32 v5, v5, v28, v8
	v_dual_fmac_f32 v7, v10, v7 :: v_dual_add_f32 v1, v1, v16
	v_div_scale_f32 v8, null, 0x461c4000, 0x461c4000, v13
	s_delay_alu instid0(TRANS32_DEP_1) | instskip(NEXT) | instid1(VALU_DEP_4)
	v_fma_f32 v20, -v15, v18, 1.0
	v_div_fixup_f32 v5, v5, 0x461c4000, v26
	s_delay_alu instid0(VALU_DEP_4) | instskip(NEXT) | instid1(VALU_DEP_4)
	v_add_f32_e32 v1, v1, v17
	v_rcp_f32_e32 v10, v8
	s_delay_alu instid0(VALU_DEP_3) | instskip(SKIP_1) | instid1(VALU_DEP_3)
	v_fmac_f32_e32 v18, v20, v18
	v_div_scale_f32 v20, s3, v14, 0x461c4000, v14
	v_add_f32_e32 v1, v1, v9
	v_div_scale_f32 v9, vcc_lo, v11, 0x461c4000, v11
	s_delay_alu instid0(TRANS32_DEP_1) | instskip(NEXT) | instid1(VALU_DEP_3)
	v_fma_f32 v16, -v8, v10, 1.0
	v_add_f32_e32 v1, v1, v19
	v_div_scale_f32 v19, s2, v13, 0x461c4000, v13
	s_delay_alu instid0(VALU_DEP_3) | instskip(SKIP_1) | instid1(VALU_DEP_4)
	v_fmac_f32_e32 v10, v16, v10
	v_div_scale_f32 v16, null, 0x461c4000, 0x461c4000, v6
	v_add_f32_e32 v1, v1, v2
	v_mul_f32_e32 v2, v9, v7
	s_delay_alu instid0(VALU_DEP_1) | instskip(NEXT) | instid1(VALU_DEP_1)
	v_fma_f32 v17, -v12, v2, v9
	v_dual_fmac_f32 v2, v17, v7 :: v_dual_mul_f32 v17, v19, v10
	s_delay_alu instid0(VALU_DEP_1) | instskip(SKIP_1) | instid1(VALU_DEP_1)
	v_dual_fma_f32 v9, -v12, v2, v9 :: v_dual_add_f32 v1, v1, v21
	v_rcp_f32_e32 v21, v16
	v_dual_fma_f32 v12, -v8, v17, v19 :: v_dual_add_f32 v1, v1, v22
	s_delay_alu instid0(VALU_DEP_1) | instskip(NEXT) | instid1(TRANS32_DEP_1)
	v_fmac_f32_e32 v17, v12, v10
	v_fma_f32 v22, -v16, v21, 1.0
	s_delay_alu instid0(VALU_DEP_3) | instskip(NEXT) | instid1(VALU_DEP_2)
	v_dual_add_f32 v1, v1, v23 :: v_dual_mul_f32 v23, v20, v18
	v_fmac_f32_e32 v21, v22, v21
	v_div_scale_f32 v22, s4, v6, 0x461c4000, v6
	s_delay_alu instid0(VALU_DEP_3) | instskip(SKIP_1) | instid1(VALU_DEP_3)
	v_add_f32_e32 v1, v1, v25
	v_div_fmas_f32 v2, v9, v7, v2
	v_dual_fma_f32 v7, -v15, v23, v20 :: v_dual_mul_f32 v9, v22, v21
	s_mov_b32 vcc_lo, s2
	s_delay_alu instid0(VALU_DEP_3) | instskip(NEXT) | instid1(VALU_DEP_3)
	v_add_f32_e32 v1, v1, v27
	v_div_fixup_f32 v2, v2, 0x461c4000, v11
	s_delay_alu instid0(VALU_DEP_3) | instskip(SKIP_1) | instid1(VALU_DEP_3)
	v_dual_fmac_f32 v23, v7, v18 :: v_dual_fma_f32 v7, -v16, v9, v22
	s_mov_b32 s2, exec_lo
	v_add_f32_e32 v1, v1, v30
	s_delay_alu instid0(VALU_DEP_1) | instskip(NEXT) | instid1(VALU_DEP_1)
	v_dual_add_f32 v1, v1, v3 :: v_dual_fma_f32 v3, -v8, v17, v19
	v_dual_add_f32 v1, v1, v4 :: v_dual_fma_f32 v4, -v15, v23, v20
	s_delay_alu instid0(VALU_DEP_2) | instskip(SKIP_1) | instid1(VALU_DEP_2)
	v_div_fmas_f32 v3, v3, v10, v17
	s_mov_b32 vcc_lo, s3
	v_add_f32_e32 v1, v1, v5
	v_fmac_f32_e32 v9, v7, v21
	v_div_fmas_f32 v4, v4, v18, v23
	v_div_fixup_f32 v3, v3, 0x461c4000, v13
	s_mov_b32 vcc_lo, s4
	s_delay_alu instid0(VALU_DEP_3) | instskip(NEXT) | instid1(VALU_DEP_3)
	v_dual_add_f32 v1, v1, v2 :: v_dual_fma_f32 v5, -v16, v9, v22
	v_div_fixup_f32 v2, v4, 0x461c4000, v14
	s_delay_alu instid0(VALU_DEP_2) | instskip(NEXT) | instid1(VALU_DEP_3)
	v_add_f32_e32 v1, v1, v3
	v_div_fmas_f32 v4, v5, v21, v9
	s_delay_alu instid0(VALU_DEP_2) | instskip(NEXT) | instid1(VALU_DEP_2)
	v_add_f32_e32 v1, v1, v2
	v_div_fixup_f32 v3, v4, 0x461c4000, v6
	s_delay_alu instid0(VALU_DEP_1) | instskip(NEXT) | instid1(VALU_DEP_1)
	v_add_f32_e32 v1, v1, v3
	v_mov_b32_dpp v2, v1 quad_perm:[1,0,3,2] row_mask:0xf bank_mask:0xf
	s_delay_alu instid0(VALU_DEP_1) | instskip(NEXT) | instid1(VALU_DEP_1)
	v_add_f32_e32 v1, v1, v2
	v_mov_b32_dpp v2, v1 quad_perm:[2,3,0,1] row_mask:0xf bank_mask:0xf
	s_delay_alu instid0(VALU_DEP_1) | instskip(NEXT) | instid1(VALU_DEP_1)
	v_add_f32_e32 v1, v1, v2
	v_mov_b32_dpp v2, v1 row_ror:4 row_mask:0xf bank_mask:0xf
	s_delay_alu instid0(VALU_DEP_1) | instskip(NEXT) | instid1(VALU_DEP_1)
	v_add_f32_e32 v1, v1, v2
	v_mov_b32_dpp v2, v1 row_ror:8 row_mask:0xf bank_mask:0xf
	s_delay_alu instid0(VALU_DEP_1)
	v_add_f32_e32 v1, v1, v2
	ds_swizzle_b32 v2, v1 offset:swizzle(BROADCAST,32,15)
	s_wait_dscnt 0x0
	v_dual_add_f32 v1, v1, v2 :: v_dual_mov_b32 v2, 0
	ds_bpermute_b32 v1, v2, v1 offset:124
	v_mbcnt_lo_u32_b32 v2, -1, 0
	s_delay_alu instid0(VALU_DEP_1)
	v_cmpx_eq_u32_e32 0, v2
	s_cbranch_execz .LBB27_71
; %bb.70:
	v_lshrrev_b32_e32 v3, 3, v0
	s_delay_alu instid0(VALU_DEP_1)
	v_and_b32_e32 v3, 28, v3
	s_wait_dscnt 0x0
	ds_store_b32 v3, v1 offset:96
.LBB27_71:
	s_or_b32 exec_lo, exec_lo, s2
	s_delay_alu instid0(SALU_CYCLE_1)
	s_mov_b32 s2, exec_lo
	s_wait_dscnt 0x0
	s_barrier_signal -1
	s_barrier_wait -1
	v_cmpx_gt_u32_e32 32, v0
	s_cbranch_execz .LBB27_73
; %bb.72:
	v_lshl_or_b32 v1, v2, 2, 0x60
	v_and_b32_e32 v3, 7, v2
	ds_load_b32 v1, v1
	v_cmp_ne_u32_e32 vcc_lo, 7, v3
	v_add_co_ci_u32_e64 v4, null, 0, v2, vcc_lo
	s_delay_alu instid0(VALU_DEP_1)
	v_lshlrev_b32_e32 v4, 2, v4
	v_cmp_gt_u32_e32 vcc_lo, 6, v3
	v_cndmask_b32_e64 v3, 0, 2, vcc_lo
	s_wait_dscnt 0x0
	ds_bpermute_b32 v4, v4, v1
	v_add_lshl_u32 v3, v3, v2, 2
	v_lshlrev_b32_e32 v2, 2, v2
	s_wait_dscnt 0x0
	s_delay_alu instid0(VALU_DEP_1)
	v_dual_add_f32 v1, v1, v4 :: v_dual_bitop2_b32 v2, 16, v2 bitop3:0x54
	ds_bpermute_b32 v3, v3, v1
	s_wait_dscnt 0x0
	v_add_f32_e32 v1, v1, v3
	ds_bpermute_b32 v2, v2, v1
	s_wait_dscnt 0x0
	v_add_f32_e32 v1, v1, v2
.LBB27_73:
	s_or_b32 exec_lo, exec_lo, s2
.LBB27_74:
	v_cmp_eq_u32_e64 s2, 0, v0
	s_and_b32 vcc_lo, exec_lo, s45
	s_cbranch_vccnz .LBB27_79
	s_branch .LBB27_253
.LBB27_75:
	s_mov_b32 s2, 0
                                        ; implicit-def: $vgpr1
                                        ; implicit-def: $sgpr40_sgpr41
	s_cbranch_execnz .LBB27_390
	s_branch .LBB27_474
.LBB27_76:
	s_mov_b32 s2, 0
                                        ; implicit-def: $vgpr1
                                        ; implicit-def: $sgpr40_sgpr41
	s_cbranch_execnz .LBB27_326
	s_branch .LBB27_350
.LBB27_77:
	s_mov_b32 s45, -1
.LBB27_78:
	s_mov_b32 s2, 0
                                        ; implicit-def: $vgpr1
                                        ; implicit-def: $sgpr40_sgpr41
	s_and_b32 vcc_lo, exec_lo, s45
	s_cbranch_vccz .LBB27_253
.LBB27_79:
	s_cmp_eq_u32 s42, 16
	s_cbranch_scc0 .LBB27_118
; %bb.80:
	s_bfe_u32 s2, ttmp6, 0x4000c
	s_and_b32 s3, ttmp6, 15
	s_add_co_i32 s2, s2, 1
	s_getreg_b32 s4, hwreg(HW_REG_IB_STS2, 6, 4)
	s_mul_i32 s2, ttmp9, s2
	s_mov_b32 s41, 0
	s_add_co_i32 s3, s3, s2
	s_cmp_eq_u32 s4, 0
	s_cselect_b32 s40, ttmp9, s3
	s_lshr_b64 s[2:3], s[36:37], 12
	s_lshl_b32 s6, s40, 12
	s_delay_alu instid0(SALU_CYCLE_1)
	s_add_co_i32 s19, s43, s6
	s_cmp_lg_u64 s[2:3], s[40:41]
	s_cbranch_scc0 .LBB27_254
; %bb.81:
	v_add_nc_u32_e32 v2, s19, v0
	s_movk_i32 s5, 0x2710
	s_brev_b32 s4, 12
	s_delay_alu instid0(VALU_DEP_1) | instskip(NEXT) | instid1(VALU_DEP_1)
	v_lshlrev_b32_e32 v1, 12, v2
	v_add3_u32 v1, v2, v1, 0x7ed55d16
	s_delay_alu instid0(VALU_DEP_1) | instskip(NEXT) | instid1(VALU_DEP_1)
	v_lshrrev_b32_e32 v3, 19, v1
	v_xor3_b32 v1, v1, v3, 0xc761c23c
	s_delay_alu instid0(VALU_DEP_1) | instskip(NEXT) | instid1(VALU_DEP_1)
	v_lshl_add_u32 v1, v1, 5, v1
	v_add_nc_u32_e32 v3, 0xe9f8cc1d, v1
	v_lshl_add_u32 v1, v1, 9, 0xaccf6200
	s_delay_alu instid0(VALU_DEP_1) | instskip(NEXT) | instid1(VALU_DEP_1)
	v_xor_b32_e32 v1, v3, v1
	v_lshlrev_b32_e32 v3, 3, v1
	s_delay_alu instid0(VALU_DEP_1) | instskip(NEXT) | instid1(VALU_DEP_1)
	v_add3_u32 v1, v1, v3, 0xfd7046c5
	v_lshrrev_b32_e32 v3, 16, v1
	s_delay_alu instid0(VALU_DEP_1) | instskip(NEXT) | instid1(VALU_DEP_1)
	v_xor3_b32 v1, v1, v3, 0xb55a4f09
	v_mul_hi_u32 v3, v1, 3
	s_delay_alu instid0(VALU_DEP_1) | instskip(NEXT) | instid1(VALU_DEP_1)
	v_sub_nc_u32_e32 v4, v1, v3
	v_lshrrev_b32_e32 v4, 1, v4
	s_delay_alu instid0(VALU_DEP_1) | instskip(NEXT) | instid1(VALU_DEP_1)
	v_add_nc_u32_e32 v3, v4, v3
	v_lshrrev_b32_e32 v3, 30, v3
	s_delay_alu instid0(VALU_DEP_1) | instskip(NEXT) | instid1(VALU_DEP_1)
	v_mul_lo_u32 v3, 0x7fffffff, v3
	v_sub_nc_u32_e32 v1, v1, v3
	s_delay_alu instid0(VALU_DEP_1)
	v_max_u32_e32 v3, 1, v1
	v_mov_b32_e32 v1, 0
.LBB27_82:                              ; =>This Inner Loop Header: Depth=1
	s_delay_alu instid0(VALU_DEP_2) | instskip(NEXT) | instid1(VALU_DEP_1)
	v_mul_hi_u32 v4, 0xbc8f1391, v3
	v_lshrrev_b32_e32 v4, 15, v4
	s_delay_alu instid0(VALU_DEP_1) | instskip(NEXT) | instid1(VALU_DEP_1)
	v_mul_u32_u24_e32 v5, 0xadc8, v4
	v_sub_nc_u32_e32 v3, v3, v5
	v_mul_u32_u24_e32 v4, 0xd47, v4
	s_delay_alu instid0(VALU_DEP_2) | instskip(NEXT) | instid1(VALU_DEP_2)
	v_mul_lo_u32 v3, 0xbc8f, v3
	v_xor_b32_e32 v5, 0x7fffffff, v4
	v_sub_nc_u32_e32 v6, 0, v4
	s_delay_alu instid0(VALU_DEP_3) | instskip(NEXT) | instid1(VALU_DEP_2)
	v_cmp_lt_u32_e32 vcc_lo, v3, v4
	v_cndmask_b32_e32 v4, v6, v5, vcc_lo
	s_delay_alu instid0(VALU_DEP_1) | instskip(NEXT) | instid1(VALU_DEP_1)
	v_add_nc_u32_e32 v3, v4, v3
	v_mul_hi_u32 v4, 0xbc8f1391, v3
	s_delay_alu instid0(VALU_DEP_1) | instskip(NEXT) | instid1(VALU_DEP_1)
	v_lshrrev_b32_e32 v4, 15, v4
	v_mul_u32_u24_e32 v5, 0xadc8, v4
	v_mul_u32_u24_e32 v4, 0xd47, v4
	s_delay_alu instid0(VALU_DEP_2) | instskip(NEXT) | instid1(VALU_DEP_2)
	v_sub_nc_u32_e32 v5, v3, v5
	v_xor_b32_e32 v6, 0x7fffffff, v4
	v_add_nc_u32_e32 v3, -1, v3
	s_delay_alu instid0(VALU_DEP_3) | instskip(SKIP_1) | instid1(VALU_DEP_2)
	v_mul_lo_u32 v5, 0xbc8f, v5
	v_sub_nc_u32_e32 v7, 0, v4
	v_cmp_lt_u32_e32 vcc_lo, v5, v4
	s_delay_alu instid0(VALU_DEP_2) | instskip(NEXT) | instid1(VALU_DEP_1)
	v_cndmask_b32_e32 v4, v7, v6, vcc_lo
	v_add_nc_u32_e32 v5, v4, v5
	s_delay_alu instid0(VALU_DEP_1) | instskip(NEXT) | instid1(VALU_DEP_1)
	v_mul_hi_u32 v4, 0xbc8f1391, v5
	v_lshrrev_b32_e32 v4, 15, v4
	s_delay_alu instid0(VALU_DEP_1) | instskip(SKIP_1) | instid1(VALU_DEP_2)
	v_mul_u32_u24_e32 v6, 0xadc8, v4
	v_mul_u32_u24_e32 v4, 0xd47, v4
	v_sub_nc_u32_e32 v6, v5, v6
	s_delay_alu instid0(VALU_DEP_2) | instskip(NEXT) | instid1(VALU_DEP_2)
	v_xor_b32_e32 v7, 0x7fffffff, v4
	v_mul_lo_u32 v6, 0xbc8f, v6
	v_sub_nc_u32_e32 v8, 0, v4
	s_delay_alu instid0(VALU_DEP_2) | instskip(NEXT) | instid1(VALU_DEP_2)
	v_cmp_lt_u32_e32 vcc_lo, v6, v4
	v_dual_cndmask_b32 v4, v8, v7, vcc_lo :: v_dual_add_f32 v8, 1.0, v1
	s_delay_alu instid0(VALU_DEP_1) | instskip(NEXT) | instid1(VALU_DEP_1)
	v_add_nc_u32_e32 v6, v4, v6
	v_mul_hi_u32 v4, 0xbc8f1391, v6
	s_delay_alu instid0(VALU_DEP_1) | instskip(NEXT) | instid1(VALU_DEP_1)
	v_lshrrev_b32_e32 v4, 15, v4
	v_mul_u32_u24_e32 v7, 0xadc8, v4
	v_mul_u32_u24_e32 v9, 0xd47, v4
	v_cvt_f32_u32_e32 v4, v3
	s_delay_alu instid0(VALU_DEP_3) | instskip(NEXT) | instid1(VALU_DEP_3)
	v_sub_nc_u32_e32 v7, v6, v7
	v_xor_b32_e32 v3, 0x7fffffff, v9
	v_dual_sub_nc_u32 v10, 0, v9 :: v_dual_add_nc_u32 v6, -1, v6
	s_delay_alu instid0(VALU_DEP_3) | instskip(NEXT) | instid1(VALU_DEP_2)
	v_mul_lo_u32 v7, 0xbc8f, v7
	v_cvt_f32_u32_e32 v6, v6
	s_delay_alu instid0(VALU_DEP_2) | instskip(NEXT) | instid1(VALU_DEP_4)
	v_cmp_lt_u32_e32 vcc_lo, v7, v9
	v_dual_add_nc_u32 v5, -1, v5 :: v_dual_cndmask_b32 v3, v10, v3, vcc_lo
	s_delay_alu instid0(VALU_DEP_1) | instskip(NEXT) | instid1(VALU_DEP_2)
	v_cvt_f32_u32_e32 v5, v5
	v_add_nc_u32_e32 v3, v3, v7
	s_delay_alu instid0(VALU_DEP_2) | instskip(NEXT) | instid1(VALU_DEP_1)
	v_pk_fma_f32 v[4:5], v[4:5], s[4:5], 0 op_sel_hi:[1,0,0]
	v_pk_mul_f32 v[4:5], v[4:5], v[4:5]
	s_delay_alu instid0(VALU_DEP_1) | instskip(NEXT) | instid1(VALU_DEP_1)
	v_dual_add_nc_u32 v7, -1, v3 :: v_dual_add_f32 v9, v4, v5
	v_cvt_f32_u32_e32 v7, v7
	s_delay_alu instid0(VALU_DEP_2) | instskip(NEXT) | instid1(VALU_DEP_2)
	v_cmp_gt_f32_e32 vcc_lo, 0xf800000, v9
	v_pk_fma_f32 v[4:5], v[6:7], s[4:5], 0 op_sel_hi:[1,0,0]
	s_add_co_i32 s5, s5, -2
	s_delay_alu instid0(SALU_CYCLE_1) | instskip(NEXT) | instid1(VALU_DEP_1)
	s_cmp_lg_u32 s5, 0
	v_pk_mul_f32 v[4:5], v[4:5], v[4:5]
	s_delay_alu instid0(VALU_DEP_1) | instskip(NEXT) | instid1(VALU_DEP_1)
	v_add_f32_e32 v4, v4, v5
	v_dual_mul_f32 v6, 0x4f800000, v9 :: v_dual_mul_f32 v7, 0x4f800000, v4
	s_delay_alu instid0(VALU_DEP_1) | instskip(SKIP_1) | instid1(VALU_DEP_2)
	v_cndmask_b32_e32 v6, v9, v6, vcc_lo
	v_cmp_gt_f32_e64 s2, 0xf800000, v4
	v_sqrt_f32_e32 v5, v6
	v_nop
	s_delay_alu instid0(TRANS32_DEP_1) | instskip(NEXT) | instid1(VALU_DEP_1)
	v_dual_add_nc_u32 v9, -1, v5 :: v_dual_cndmask_b32 v4, v4, v7, s2
	v_dual_add_nc_u32 v7, 1, v5 :: v_dual_fma_f32 v10, -v9, v5, v6
	s_delay_alu instid0(VALU_DEP_2) | instskip(NEXT) | instid1(VALU_DEP_1)
	v_sqrt_f32_e32 v11, v4
	v_fma_f32 v12, -v7, v5, v6
	s_delay_alu instid0(VALU_DEP_2)
	v_cmp_ge_f32_e64 s3, 0, v10
	s_delay_alu instid0(TRANS32_DEP_1) | instid1(VALU_DEP_1)
	v_dual_cndmask_b32 v5, v5, v9, s3 :: v_dual_add_nc_u32 v9, -1, v11
	s_delay_alu instid0(VALU_DEP_3) | instskip(NEXT) | instid1(VALU_DEP_1)
	v_cmp_lt_f32_e64 s3, 0, v12
	v_cndmask_b32_e64 v5, v5, v7, s3
	s_delay_alu instid0(VALU_DEP_3) | instskip(NEXT) | instid1(VALU_DEP_1)
	v_dual_add_nc_u32 v7, 1, v11 :: v_dual_fma_f32 v10, -v9, v11, v4
	v_fma_f32 v13, -v7, v11, v4
	s_delay_alu instid0(VALU_DEP_2) | instskip(NEXT) | instid1(VALU_DEP_1)
	v_cmp_ge_f32_e64 s3, 0, v10
	v_cndmask_b32_e64 v9, v11, v9, s3
	v_mul_f32_e32 v12, 0x37800000, v5
	s_delay_alu instid0(VALU_DEP_4) | instskip(NEXT) | instid1(VALU_DEP_1)
	v_cmp_lt_f32_e64 s3, 0, v13
	v_cndmask_b32_e64 v7, v9, v7, s3
	s_delay_alu instid0(VALU_DEP_3) | instskip(SKIP_1) | instid1(VALU_DEP_2)
	v_cndmask_b32_e32 v5, v5, v12, vcc_lo
	v_cmp_class_f32_e64 vcc_lo, v6, 0x260
	v_cndmask_b32_e32 v5, v5, v6, vcc_lo
	s_delay_alu instid0(VALU_DEP_1) | instskip(SKIP_2) | instid1(VALU_DEP_2)
	v_cmp_nge_f32_e32 vcc_lo, 1.0, v5
	v_dual_cndmask_b32 v1, v8, v1 :: v_dual_mul_f32 v6, 0x37800000, v7
	v_cmp_class_f32_e64 vcc_lo, v4, 0x260
	v_dual_cndmask_b32 v5, v7, v6, s2 :: v_dual_add_f32 v6, 1.0, v1
	s_delay_alu instid0(VALU_DEP_1) | instskip(NEXT) | instid1(VALU_DEP_1)
	v_cndmask_b32_e32 v4, v5, v4, vcc_lo
	v_cmp_nge_f32_e32 vcc_lo, 1.0, v4
	s_delay_alu instid0(VALU_DEP_3)
	v_cndmask_b32_e32 v1, v6, v1, vcc_lo
	s_cbranch_scc1 .LBB27_82
; %bb.83:
	v_lshl_add_u32 v4, v2, 12, v2
	s_movk_i32 s5, 0x2710
	s_brev_b32 s4, 12
	s_delay_alu instid0(VALU_DEP_1) | instskip(NEXT) | instid1(VALU_DEP_1)
	v_add_nc_u32_e32 v2, 0x7ee55e16, v4
	v_lshrrev_b32_e32 v3, 19, v2
	s_delay_alu instid0(VALU_DEP_1) | instskip(NEXT) | instid1(VALU_DEP_1)
	v_xor3_b32 v2, v2, v3, 0xc761c23c
	v_lshl_add_u32 v2, v2, 5, v2
	s_delay_alu instid0(VALU_DEP_1) | instskip(SKIP_1) | instid1(VALU_DEP_1)
	v_add_nc_u32_e32 v3, 0xe9f8cc1d, v2
	v_lshl_add_u32 v2, v2, 9, 0xaccf6200
	v_xor_b32_e32 v2, v3, v2
	s_delay_alu instid0(VALU_DEP_1) | instskip(NEXT) | instid1(VALU_DEP_1)
	v_lshlrev_b32_e32 v3, 3, v2
	v_add3_u32 v2, v2, v3, 0xfd7046c5
	s_delay_alu instid0(VALU_DEP_1) | instskip(NEXT) | instid1(VALU_DEP_1)
	v_lshrrev_b32_e32 v3, 16, v2
	v_xor3_b32 v2, v2, v3, 0xb55a4f09
	s_delay_alu instid0(VALU_DEP_1) | instskip(NEXT) | instid1(VALU_DEP_1)
	v_mul_hi_u32 v3, v2, 3
	v_sub_nc_u32_e32 v5, v2, v3
	s_delay_alu instid0(VALU_DEP_1) | instskip(NEXT) | instid1(VALU_DEP_1)
	v_lshrrev_b32_e32 v5, 1, v5
	v_add_nc_u32_e32 v3, v5, v3
	s_delay_alu instid0(VALU_DEP_1) | instskip(NEXT) | instid1(VALU_DEP_1)
	v_lshrrev_b32_e32 v3, 30, v3
	v_mul_lo_u32 v3, 0x7fffffff, v3
	s_delay_alu instid0(VALU_DEP_1) | instskip(NEXT) | instid1(VALU_DEP_1)
	v_sub_nc_u32_e32 v2, v2, v3
	v_max_u32_e32 v3, 1, v2
	v_mov_b32_e32 v2, 0
.LBB27_84:                              ; =>This Inner Loop Header: Depth=1
	s_delay_alu instid0(VALU_DEP_2) | instskip(NEXT) | instid1(VALU_DEP_1)
	v_mul_hi_u32 v5, 0xbc8f1391, v3
	v_dual_add_f32 v10, 1.0, v2 :: v_dual_lshrrev_b32 v5, 15, v5
	s_delay_alu instid0(VALU_DEP_1) | instskip(NEXT) | instid1(VALU_DEP_1)
	v_mul_u32_u24_e32 v6, 0xadc8, v5
	v_sub_nc_u32_e32 v3, v3, v6
	v_mul_u32_u24_e32 v5, 0xd47, v5
	s_delay_alu instid0(VALU_DEP_2) | instskip(NEXT) | instid1(VALU_DEP_2)
	v_mul_lo_u32 v3, 0xbc8f, v3
	v_xor_b32_e32 v6, 0x7fffffff, v5
	v_sub_nc_u32_e32 v7, 0, v5
	s_delay_alu instid0(VALU_DEP_3) | instskip(NEXT) | instid1(VALU_DEP_2)
	v_cmp_lt_u32_e32 vcc_lo, v3, v5
	v_cndmask_b32_e32 v5, v7, v6, vcc_lo
	s_delay_alu instid0(VALU_DEP_1) | instskip(NEXT) | instid1(VALU_DEP_1)
	v_add_nc_u32_e32 v3, v5, v3
	v_mul_hi_u32 v5, 0xbc8f1391, v3
	s_delay_alu instid0(VALU_DEP_1) | instskip(NEXT) | instid1(VALU_DEP_1)
	v_lshrrev_b32_e32 v5, 15, v5
	v_mul_u32_u24_e32 v6, 0xadc8, v5
	s_delay_alu instid0(VALU_DEP_1) | instskip(SKIP_1) | instid1(VALU_DEP_2)
	v_sub_nc_u32_e32 v6, v3, v6
	v_mul_u32_u24_e32 v5, 0xd47, v5
	v_mul_lo_u32 v6, 0xbc8f, v6
	s_delay_alu instid0(VALU_DEP_2) | instskip(SKIP_1) | instid1(VALU_DEP_3)
	v_xor_b32_e32 v7, 0x7fffffff, v5
	v_sub_nc_u32_e32 v8, 0, v5
	v_cmp_lt_u32_e32 vcc_lo, v6, v5
	s_delay_alu instid0(VALU_DEP_2) | instskip(NEXT) | instid1(VALU_DEP_1)
	v_cndmask_b32_e32 v5, v8, v7, vcc_lo
	v_add_nc_u32_e32 v5, v5, v6
	s_delay_alu instid0(VALU_DEP_1) | instskip(NEXT) | instid1(VALU_DEP_1)
	v_mul_hi_u32 v6, 0xbc8f1391, v5
	v_lshrrev_b32_e32 v6, 15, v6
	s_delay_alu instid0(VALU_DEP_1) | instskip(SKIP_1) | instid1(VALU_DEP_2)
	v_mul_u32_u24_e32 v7, 0xadc8, v6
	v_mul_u32_u24_e32 v6, 0xd47, v6
	v_sub_nc_u32_e32 v7, v5, v7
	s_delay_alu instid0(VALU_DEP_2) | instskip(SKIP_1) | instid1(VALU_DEP_3)
	v_xor_b32_e32 v8, 0x7fffffff, v6
	v_dual_sub_nc_u32 v9, 0, v6 :: v_dual_add_nc_u32 v5, -1, v5
	v_mul_lo_u32 v7, 0xbc8f, v7
	s_delay_alu instid0(VALU_DEP_1) | instskip(NEXT) | instid1(VALU_DEP_3)
	v_cmp_lt_u32_e32 vcc_lo, v7, v6
	v_cndmask_b32_e32 v6, v9, v8, vcc_lo
	s_delay_alu instid0(VALU_DEP_1) | instskip(NEXT) | instid1(VALU_DEP_1)
	v_add_nc_u32_e32 v8, v6, v7
	v_mul_hi_u32 v6, 0xbc8f1391, v8
	s_delay_alu instid0(VALU_DEP_1) | instskip(NEXT) | instid1(VALU_DEP_1)
	v_lshrrev_b32_e32 v6, 15, v6
	v_mul_u32_u24_e32 v7, 0xadc8, v6
	s_delay_alu instid0(VALU_DEP_1) | instskip(NEXT) | instid1(VALU_DEP_1)
	v_sub_nc_u32_e32 v7, v8, v7
	v_mul_lo_u32 v9, 0xbc8f, v7
	v_mul_u32_u24_e32 v7, 0xd47, v6
	s_delay_alu instid0(VALU_DEP_1) | instskip(SKIP_1) | instid1(VALU_DEP_4)
	v_sub_nc_u32_e32 v11, 0, v7
	v_add_nc_u32_e32 v3, -1, v3
	v_cmp_lt_u32_e32 vcc_lo, v9, v7
	s_delay_alu instid0(VALU_DEP_2) | instskip(SKIP_3) | instid1(VALU_DEP_2)
	v_cvt_f32_u32_e32 v6, v3
	v_xor_b32_e32 v3, 0x7fffffff, v7
	v_cvt_f32_u32_e32 v7, v5
	v_add_nc_u32_e32 v5, -1, v8
	v_pk_fma_f32 v[6:7], v[6:7], s[4:5], 0 op_sel_hi:[1,0,0]
	s_delay_alu instid0(VALU_DEP_2) | instskip(NEXT) | instid1(VALU_DEP_2)
	v_cvt_f32_u32_e32 v8, v5
	v_pk_mul_f32 v[6:7], v[6:7], v[6:7]
	s_delay_alu instid0(VALU_DEP_1) | instskip(SKIP_1) | instid1(VALU_DEP_2)
	v_add_f32_e32 v5, v6, v7
	v_cndmask_b32_e32 v3, v11, v3, vcc_lo
	v_cmp_gt_f32_e32 vcc_lo, 0xf800000, v5
	s_delay_alu instid0(VALU_DEP_2) | instskip(NEXT) | instid1(VALU_DEP_1)
	v_add_nc_u32_e32 v3, v3, v9
	v_add_nc_u32_e32 v9, -1, v3
	s_delay_alu instid0(VALU_DEP_1) | instskip(NEXT) | instid1(VALU_DEP_1)
	v_cvt_f32_u32_e32 v9, v9
	v_pk_fma_f32 v[6:7], v[8:9], s[4:5], 0 op_sel_hi:[1,0,0]
	s_add_co_i32 s5, s5, -2
	s_delay_alu instid0(SALU_CYCLE_1) | instskip(NEXT) | instid1(VALU_DEP_1)
	s_cmp_lg_u32 s5, 0
	v_pk_mul_f32 v[6:7], v[6:7], v[6:7]
	s_delay_alu instid0(VALU_DEP_1) | instskip(SKIP_1) | instid1(VALU_DEP_2)
	v_add_f32_e32 v6, v6, v7
	v_mul_f32_e32 v8, 0x4f800000, v5
	v_cmp_gt_f32_e64 s2, 0xf800000, v6
	s_delay_alu instid0(VALU_DEP_2) | instskip(NEXT) | instid1(VALU_DEP_1)
	v_dual_cndmask_b32 v5, v5, v8 :: v_dual_mul_f32 v8, 0x4f800000, v6
	v_sqrt_f32_e32 v7, v5
	s_delay_alu instid0(VALU_DEP_1) | instskip(NEXT) | instid1(VALU_DEP_1)
	v_cndmask_b32_e64 v6, v6, v8, s2
	v_sqrt_f32_e32 v12, v6
	s_delay_alu instid0(TRANS32_DEP_2) | instskip(NEXT) | instid1(VALU_DEP_1)
	v_dual_add_nc_u32 v9, -1, v7 :: v_dual_add_nc_u32 v8, 1, v7
	v_fma_f32 v11, -v9, v7, v5
	s_delay_alu instid0(VALU_DEP_1) | instskip(NEXT) | instid1(VALU_DEP_1)
	v_cmp_ge_f32_e64 s3, 0, v11
	v_dual_fma_f32 v13, -v8, v7, v5 :: v_dual_cndmask_b32 v7, v7, v9, s3
	s_delay_alu instid0(VALU_DEP_1) | instskip(NEXT) | instid1(TRANS32_DEP_1)
	v_cmp_lt_f32_e64 s3, 0, v13
	v_add_nc_u32_e32 v9, -1, v12
	s_delay_alu instid0(VALU_DEP_2) | instskip(NEXT) | instid1(VALU_DEP_2)
	v_cndmask_b32_e64 v7, v7, v8, s3
	v_dual_add_nc_u32 v8, 1, v12 :: v_dual_fma_f32 v11, -v9, v12, v6
	s_delay_alu instid0(VALU_DEP_1) | instskip(NEXT) | instid1(VALU_DEP_2)
	v_fma_f32 v14, -v8, v12, v6
	v_cmp_ge_f32_e64 s3, 0, v11
	s_delay_alu instid0(VALU_DEP_1) | instskip(SKIP_1) | instid1(VALU_DEP_4)
	v_cndmask_b32_e64 v9, v12, v9, s3
	v_mul_f32_e32 v13, 0x37800000, v7
	v_cmp_lt_f32_e64 s3, 0, v14
	s_delay_alu instid0(VALU_DEP_1) | instskip(SKIP_1) | instid1(VALU_DEP_2)
	v_dual_cndmask_b32 v7, v7, v13, vcc_lo :: v_dual_cndmask_b32 v8, v9, v8, s3
	v_cmp_class_f32_e64 vcc_lo, v5, 0x260
	v_cndmask_b32_e32 v5, v7, v5, vcc_lo
	s_delay_alu instid0(VALU_DEP_3) | instskip(NEXT) | instid1(VALU_DEP_2)
	v_mul_f32_e32 v7, 0x37800000, v8
	v_cmp_nge_f32_e32 vcc_lo, 1.0, v5
	s_delay_alu instid0(VALU_DEP_2) | instskip(SKIP_1) | instid1(VALU_DEP_2)
	v_dual_cndmask_b32 v2, v10, v2, vcc_lo :: v_dual_cndmask_b32 v5, v8, v7, s2
	v_cmp_class_f32_e64 vcc_lo, v6, 0x260
	v_add_f32_e32 v7, 1.0, v2
	s_delay_alu instid0(VALU_DEP_3) | instskip(NEXT) | instid1(VALU_DEP_1)
	v_cndmask_b32_e32 v5, v5, v6, vcc_lo
	v_cmp_nge_f32_e32 vcc_lo, 1.0, v5
	s_delay_alu instid0(VALU_DEP_3)
	v_cndmask_b32_e32 v2, v7, v2, vcc_lo
	s_cbranch_scc1 .LBB27_84
; %bb.85:
	v_add_nc_u32_e32 v3, 0x7ef55f16, v4
	s_movk_i32 s5, 0x2710
	s_brev_b32 s4, 12
	s_delay_alu instid0(VALU_DEP_1) | instskip(NEXT) | instid1(VALU_DEP_1)
	v_lshrrev_b32_e32 v5, 19, v3
	v_xor3_b32 v3, v3, v5, 0xc761c23c
	s_delay_alu instid0(VALU_DEP_1) | instskip(NEXT) | instid1(VALU_DEP_1)
	v_lshl_add_u32 v3, v3, 5, v3
	v_add_nc_u32_e32 v5, 0xe9f8cc1d, v3
	v_lshl_add_u32 v3, v3, 9, 0xaccf6200
	s_delay_alu instid0(VALU_DEP_1) | instskip(NEXT) | instid1(VALU_DEP_1)
	v_xor_b32_e32 v3, v5, v3
	v_lshlrev_b32_e32 v5, 3, v3
	s_delay_alu instid0(VALU_DEP_1) | instskip(NEXT) | instid1(VALU_DEP_1)
	v_add3_u32 v3, v3, v5, 0xfd7046c5
	v_lshrrev_b32_e32 v5, 16, v3
	s_delay_alu instid0(VALU_DEP_1) | instskip(NEXT) | instid1(VALU_DEP_1)
	v_xor3_b32 v3, v3, v5, 0xb55a4f09
	v_mul_hi_u32 v5, v3, 3
	s_delay_alu instid0(VALU_DEP_1) | instskip(NEXT) | instid1(VALU_DEP_1)
	v_sub_nc_u32_e32 v6, v3, v5
	v_lshrrev_b32_e32 v6, 1, v6
	s_delay_alu instid0(VALU_DEP_1) | instskip(NEXT) | instid1(VALU_DEP_1)
	v_add_nc_u32_e32 v5, v6, v5
	v_lshrrev_b32_e32 v5, 30, v5
	s_delay_alu instid0(VALU_DEP_1) | instskip(NEXT) | instid1(VALU_DEP_1)
	v_mul_lo_u32 v5, 0x7fffffff, v5
	v_sub_nc_u32_e32 v3, v3, v5
	s_delay_alu instid0(VALU_DEP_1)
	v_max_u32_e32 v5, 1, v3
	v_mov_b32_e32 v3, 0
.LBB27_86:                              ; =>This Inner Loop Header: Depth=1
	s_delay_alu instid0(VALU_DEP_2) | instskip(NEXT) | instid1(VALU_DEP_1)
	v_mul_hi_u32 v6, 0xbc8f1391, v5
	v_lshrrev_b32_e32 v6, 15, v6
	s_delay_alu instid0(VALU_DEP_1) | instskip(NEXT) | instid1(VALU_DEP_1)
	v_mul_u32_u24_e32 v7, 0xadc8, v6
	v_sub_nc_u32_e32 v5, v5, v7
	v_mul_u32_u24_e32 v6, 0xd47, v6
	s_delay_alu instid0(VALU_DEP_2) | instskip(NEXT) | instid1(VALU_DEP_2)
	v_mul_lo_u32 v5, 0xbc8f, v5
	v_xor_b32_e32 v7, 0x7fffffff, v6
	v_sub_nc_u32_e32 v8, 0, v6
	s_delay_alu instid0(VALU_DEP_3) | instskip(NEXT) | instid1(VALU_DEP_2)
	v_cmp_lt_u32_e32 vcc_lo, v5, v6
	v_cndmask_b32_e32 v6, v8, v7, vcc_lo
	s_delay_alu instid0(VALU_DEP_1) | instskip(NEXT) | instid1(VALU_DEP_1)
	v_add_nc_u32_e32 v5, v6, v5
	v_mul_hi_u32 v6, 0xbc8f1391, v5
	s_delay_alu instid0(VALU_DEP_1) | instskip(NEXT) | instid1(VALU_DEP_1)
	v_lshrrev_b32_e32 v6, 15, v6
	v_mul_u32_u24_e32 v7, 0xadc8, v6
	v_mul_u32_u24_e32 v6, 0xd47, v6
	s_delay_alu instid0(VALU_DEP_2) | instskip(NEXT) | instid1(VALU_DEP_2)
	v_sub_nc_u32_e32 v7, v5, v7
	v_xor_b32_e32 v8, 0x7fffffff, v6
	v_add_nc_u32_e32 v5, -1, v5
	s_delay_alu instid0(VALU_DEP_3) | instskip(SKIP_1) | instid1(VALU_DEP_2)
	v_mul_lo_u32 v7, 0xbc8f, v7
	v_sub_nc_u32_e32 v9, 0, v6
	v_cmp_lt_u32_e32 vcc_lo, v7, v6
	s_delay_alu instid0(VALU_DEP_2) | instskip(NEXT) | instid1(VALU_DEP_1)
	v_cndmask_b32_e32 v6, v9, v8, vcc_lo
	v_add_nc_u32_e32 v7, v6, v7
	s_delay_alu instid0(VALU_DEP_1) | instskip(NEXT) | instid1(VALU_DEP_1)
	v_mul_hi_u32 v6, 0xbc8f1391, v7
	v_lshrrev_b32_e32 v6, 15, v6
	s_delay_alu instid0(VALU_DEP_1) | instskip(SKIP_1) | instid1(VALU_DEP_2)
	v_mul_u32_u24_e32 v8, 0xadc8, v6
	v_mul_u32_u24_e32 v6, 0xd47, v6
	v_sub_nc_u32_e32 v8, v7, v8
	s_delay_alu instid0(VALU_DEP_2) | instskip(NEXT) | instid1(VALU_DEP_2)
	v_xor_b32_e32 v9, 0x7fffffff, v6
	v_mul_lo_u32 v8, 0xbc8f, v8
	v_sub_nc_u32_e32 v10, 0, v6
	s_delay_alu instid0(VALU_DEP_2) | instskip(NEXT) | instid1(VALU_DEP_2)
	v_cmp_lt_u32_e32 vcc_lo, v8, v6
	v_dual_cndmask_b32 v6, v10, v9, vcc_lo :: v_dual_add_f32 v10, 1.0, v3
	s_delay_alu instid0(VALU_DEP_1) | instskip(NEXT) | instid1(VALU_DEP_1)
	v_add_nc_u32_e32 v8, v6, v8
	v_mul_hi_u32 v6, 0xbc8f1391, v8
	s_delay_alu instid0(VALU_DEP_1) | instskip(NEXT) | instid1(VALU_DEP_1)
	v_lshrrev_b32_e32 v6, 15, v6
	v_mul_u32_u24_e32 v9, 0xadc8, v6
	v_mul_u32_u24_e32 v11, 0xd47, v6
	v_cvt_f32_u32_e32 v6, v5
	s_delay_alu instid0(VALU_DEP_3) | instskip(NEXT) | instid1(VALU_DEP_3)
	v_sub_nc_u32_e32 v9, v8, v9
	v_xor_b32_e32 v5, 0x7fffffff, v11
	v_dual_sub_nc_u32 v12, 0, v11 :: v_dual_add_nc_u32 v8, -1, v8
	s_delay_alu instid0(VALU_DEP_3) | instskip(NEXT) | instid1(VALU_DEP_2)
	v_mul_lo_u32 v9, 0xbc8f, v9
	v_cvt_f32_u32_e32 v8, v8
	s_delay_alu instid0(VALU_DEP_2) | instskip(NEXT) | instid1(VALU_DEP_4)
	v_cmp_lt_u32_e32 vcc_lo, v9, v11
	v_dual_add_nc_u32 v7, -1, v7 :: v_dual_cndmask_b32 v5, v12, v5, vcc_lo
	s_delay_alu instid0(VALU_DEP_1) | instskip(NEXT) | instid1(VALU_DEP_2)
	v_cvt_f32_u32_e32 v7, v7
	v_add_nc_u32_e32 v5, v5, v9
	s_delay_alu instid0(VALU_DEP_2) | instskip(NEXT) | instid1(VALU_DEP_1)
	v_pk_fma_f32 v[6:7], v[6:7], s[4:5], 0 op_sel_hi:[1,0,0]
	v_pk_mul_f32 v[6:7], v[6:7], v[6:7]
	s_delay_alu instid0(VALU_DEP_1) | instskip(NEXT) | instid1(VALU_DEP_1)
	v_dual_add_nc_u32 v9, -1, v5 :: v_dual_add_f32 v11, v6, v7
	v_cvt_f32_u32_e32 v9, v9
	s_delay_alu instid0(VALU_DEP_2) | instskip(NEXT) | instid1(VALU_DEP_2)
	v_cmp_gt_f32_e32 vcc_lo, 0xf800000, v11
	v_pk_fma_f32 v[6:7], v[8:9], s[4:5], 0 op_sel_hi:[1,0,0]
	s_add_co_i32 s5, s5, -2
	s_delay_alu instid0(SALU_CYCLE_1) | instskip(NEXT) | instid1(VALU_DEP_1)
	s_cmp_lg_u32 s5, 0
	v_pk_mul_f32 v[6:7], v[6:7], v[6:7]
	s_delay_alu instid0(VALU_DEP_1) | instskip(NEXT) | instid1(VALU_DEP_1)
	v_add_f32_e32 v6, v6, v7
	v_dual_mul_f32 v8, 0x4f800000, v11 :: v_dual_mul_f32 v9, 0x4f800000, v6
	s_delay_alu instid0(VALU_DEP_1) | instskip(SKIP_1) | instid1(VALU_DEP_2)
	v_cndmask_b32_e32 v8, v11, v8, vcc_lo
	v_cmp_gt_f32_e64 s2, 0xf800000, v6
	v_sqrt_f32_e32 v7, v8
	v_nop
	s_delay_alu instid0(TRANS32_DEP_1) | instskip(NEXT) | instid1(VALU_DEP_1)
	v_dual_add_nc_u32 v11, -1, v7 :: v_dual_cndmask_b32 v6, v6, v9, s2
	v_dual_add_nc_u32 v9, 1, v7 :: v_dual_fma_f32 v12, -v11, v7, v8
	s_delay_alu instid0(VALU_DEP_2) | instskip(NEXT) | instid1(VALU_DEP_1)
	v_sqrt_f32_e32 v13, v6
	v_fma_f32 v14, -v9, v7, v8
	s_delay_alu instid0(VALU_DEP_2)
	v_cmp_ge_f32_e64 s3, 0, v12
	s_delay_alu instid0(TRANS32_DEP_1) | instid1(VALU_DEP_1)
	v_dual_cndmask_b32 v7, v7, v11, s3 :: v_dual_add_nc_u32 v11, -1, v13
	s_delay_alu instid0(VALU_DEP_3) | instskip(NEXT) | instid1(VALU_DEP_1)
	v_cmp_lt_f32_e64 s3, 0, v14
	v_cndmask_b32_e64 v7, v7, v9, s3
	s_delay_alu instid0(VALU_DEP_3) | instskip(NEXT) | instid1(VALU_DEP_1)
	v_dual_add_nc_u32 v9, 1, v13 :: v_dual_fma_f32 v12, -v11, v13, v6
	v_fma_f32 v15, -v9, v13, v6
	s_delay_alu instid0(VALU_DEP_2) | instskip(NEXT) | instid1(VALU_DEP_1)
	v_cmp_ge_f32_e64 s3, 0, v12
	v_cndmask_b32_e64 v11, v13, v11, s3
	v_mul_f32_e32 v14, 0x37800000, v7
	s_delay_alu instid0(VALU_DEP_4) | instskip(NEXT) | instid1(VALU_DEP_1)
	v_cmp_lt_f32_e64 s3, 0, v15
	v_cndmask_b32_e64 v9, v11, v9, s3
	s_delay_alu instid0(VALU_DEP_3) | instskip(SKIP_1) | instid1(VALU_DEP_2)
	v_cndmask_b32_e32 v7, v7, v14, vcc_lo
	v_cmp_class_f32_e64 vcc_lo, v8, 0x260
	v_cndmask_b32_e32 v7, v7, v8, vcc_lo
	s_delay_alu instid0(VALU_DEP_1) | instskip(SKIP_2) | instid1(VALU_DEP_2)
	v_cmp_nge_f32_e32 vcc_lo, 1.0, v7
	v_dual_cndmask_b32 v3, v10, v3 :: v_dual_mul_f32 v8, 0x37800000, v9
	v_cmp_class_f32_e64 vcc_lo, v6, 0x260
	v_dual_cndmask_b32 v7, v9, v8, s2 :: v_dual_add_f32 v8, 1.0, v3
	s_delay_alu instid0(VALU_DEP_1) | instskip(NEXT) | instid1(VALU_DEP_1)
	v_cndmask_b32_e32 v6, v7, v6, vcc_lo
	v_cmp_nge_f32_e32 vcc_lo, 1.0, v6
	s_delay_alu instid0(VALU_DEP_3)
	v_cndmask_b32_e32 v3, v8, v3, vcc_lo
	s_cbranch_scc1 .LBB27_86
; %bb.87:
	v_add_nc_u32_e32 v5, 0x7f056016, v4
	s_movk_i32 s5, 0x2710
	s_brev_b32 s4, 12
	s_delay_alu instid0(VALU_DEP_1) | instskip(NEXT) | instid1(VALU_DEP_1)
	v_lshrrev_b32_e32 v6, 19, v5
	v_xor3_b32 v5, v5, v6, 0xc761c23c
	s_delay_alu instid0(VALU_DEP_1) | instskip(NEXT) | instid1(VALU_DEP_1)
	v_lshl_add_u32 v5, v5, 5, v5
	v_add_nc_u32_e32 v6, 0xe9f8cc1d, v5
	v_lshl_add_u32 v5, v5, 9, 0xaccf6200
	s_delay_alu instid0(VALU_DEP_1) | instskip(NEXT) | instid1(VALU_DEP_1)
	v_xor_b32_e32 v5, v6, v5
	v_lshlrev_b32_e32 v6, 3, v5
	s_delay_alu instid0(VALU_DEP_1) | instskip(NEXT) | instid1(VALU_DEP_1)
	v_add3_u32 v5, v5, v6, 0xfd7046c5
	v_lshrrev_b32_e32 v6, 16, v5
	s_delay_alu instid0(VALU_DEP_1) | instskip(NEXT) | instid1(VALU_DEP_1)
	v_xor3_b32 v5, v5, v6, 0xb55a4f09
	v_mul_hi_u32 v6, v5, 3
	s_delay_alu instid0(VALU_DEP_1) | instskip(NEXT) | instid1(VALU_DEP_1)
	v_sub_nc_u32_e32 v7, v5, v6
	v_lshrrev_b32_e32 v7, 1, v7
	s_delay_alu instid0(VALU_DEP_1) | instskip(NEXT) | instid1(VALU_DEP_1)
	v_add_nc_u32_e32 v6, v7, v6
	v_lshrrev_b32_e32 v6, 30, v6
	s_delay_alu instid0(VALU_DEP_1) | instskip(NEXT) | instid1(VALU_DEP_1)
	v_mul_lo_u32 v6, 0x7fffffff, v6
	v_sub_nc_u32_e32 v5, v5, v6
	s_delay_alu instid0(VALU_DEP_1)
	v_max_u32_e32 v6, 1, v5
	v_mov_b32_e32 v5, 0
.LBB27_88:                              ; =>This Inner Loop Header: Depth=1
	s_delay_alu instid0(VALU_DEP_2) | instskip(NEXT) | instid1(VALU_DEP_1)
	v_mul_hi_u32 v7, 0xbc8f1391, v6
	v_dual_add_f32 v12, 1.0, v5 :: v_dual_lshrrev_b32 v7, 15, v7
	s_delay_alu instid0(VALU_DEP_1) | instskip(NEXT) | instid1(VALU_DEP_1)
	v_mul_u32_u24_e32 v8, 0xadc8, v7
	v_sub_nc_u32_e32 v6, v6, v8
	v_mul_u32_u24_e32 v7, 0xd47, v7
	s_delay_alu instid0(VALU_DEP_2) | instskip(NEXT) | instid1(VALU_DEP_2)
	v_mul_lo_u32 v6, 0xbc8f, v6
	v_xor_b32_e32 v8, 0x7fffffff, v7
	v_sub_nc_u32_e32 v9, 0, v7
	s_delay_alu instid0(VALU_DEP_3) | instskip(NEXT) | instid1(VALU_DEP_2)
	v_cmp_lt_u32_e32 vcc_lo, v6, v7
	v_cndmask_b32_e32 v7, v9, v8, vcc_lo
	s_delay_alu instid0(VALU_DEP_1) | instskip(NEXT) | instid1(VALU_DEP_1)
	v_add_nc_u32_e32 v6, v7, v6
	v_mul_hi_u32 v7, 0xbc8f1391, v6
	s_delay_alu instid0(VALU_DEP_1) | instskip(NEXT) | instid1(VALU_DEP_1)
	v_lshrrev_b32_e32 v7, 15, v7
	v_mul_u32_u24_e32 v8, 0xadc8, v7
	v_mul_u32_u24_e32 v7, 0xd47, v7
	s_delay_alu instid0(VALU_DEP_2) | instskip(NEXT) | instid1(VALU_DEP_2)
	v_sub_nc_u32_e32 v8, v6, v8
	v_xor_b32_e32 v9, 0x7fffffff, v7
	v_add_nc_u32_e32 v6, -1, v6
	s_delay_alu instid0(VALU_DEP_3) | instskip(SKIP_1) | instid1(VALU_DEP_2)
	v_mul_lo_u32 v8, 0xbc8f, v8
	v_sub_nc_u32_e32 v10, 0, v7
	v_cmp_lt_u32_e32 vcc_lo, v8, v7
	s_delay_alu instid0(VALU_DEP_2) | instskip(NEXT) | instid1(VALU_DEP_1)
	v_cndmask_b32_e32 v7, v10, v9, vcc_lo
	v_add_nc_u32_e32 v7, v7, v8
	s_delay_alu instid0(VALU_DEP_1) | instskip(NEXT) | instid1(VALU_DEP_1)
	v_mul_hi_u32 v8, 0xbc8f1391, v7
	v_lshrrev_b32_e32 v8, 15, v8
	s_delay_alu instid0(VALU_DEP_1) | instskip(SKIP_1) | instid1(VALU_DEP_2)
	v_mul_u32_u24_e32 v9, 0xadc8, v8
	v_mul_u32_u24_e32 v8, 0xd47, v8
	v_sub_nc_u32_e32 v9, v7, v9
	s_delay_alu instid0(VALU_DEP_2) | instskip(SKIP_1) | instid1(VALU_DEP_3)
	v_xor_b32_e32 v10, 0x7fffffff, v8
	v_dual_sub_nc_u32 v11, 0, v8 :: v_dual_add_nc_u32 v7, -1, v7
	v_mul_lo_u32 v9, 0xbc8f, v9
	s_delay_alu instid0(VALU_DEP_1) | instskip(NEXT) | instid1(VALU_DEP_3)
	v_cmp_lt_u32_e32 vcc_lo, v9, v8
	v_cndmask_b32_e32 v8, v11, v10, vcc_lo
	s_delay_alu instid0(VALU_DEP_1) | instskip(NEXT) | instid1(VALU_DEP_1)
	v_add_nc_u32_e32 v10, v8, v9
	v_mul_hi_u32 v8, 0xbc8f1391, v10
	s_delay_alu instid0(VALU_DEP_1) | instskip(NEXT) | instid1(VALU_DEP_1)
	v_lshrrev_b32_e32 v8, 15, v8
	v_mul_u32_u24_e32 v9, 0xadc8, v8
	s_delay_alu instid0(VALU_DEP_1) | instskip(NEXT) | instid1(VALU_DEP_1)
	v_sub_nc_u32_e32 v9, v10, v9
	v_mul_lo_u32 v11, 0xbc8f, v9
	v_mul_u32_u24_e32 v9, 0xd47, v8
	v_cvt_f32_u32_e32 v8, v6
	s_delay_alu instid0(VALU_DEP_2) | instskip(SKIP_4) | instid1(VALU_DEP_2)
	v_xor_b32_e32 v6, 0x7fffffff, v9
	v_sub_nc_u32_e32 v13, 0, v9
	v_cmp_lt_u32_e32 vcc_lo, v11, v9
	v_cvt_f32_u32_e32 v9, v7
	v_add_nc_u32_e32 v7, -1, v10
	v_pk_fma_f32 v[8:9], v[8:9], s[4:5], 0 op_sel_hi:[1,0,0]
	s_delay_alu instid0(VALU_DEP_2) | instskip(NEXT) | instid1(VALU_DEP_2)
	v_cvt_f32_u32_e32 v10, v7
	v_pk_mul_f32 v[8:9], v[8:9], v[8:9]
	s_delay_alu instid0(VALU_DEP_1) | instskip(NEXT) | instid1(VALU_DEP_1)
	v_dual_cndmask_b32 v6, v13, v6 :: v_dual_add_f32 v7, v8, v9
	v_add_nc_u32_e32 v6, v6, v11
	s_delay_alu instid0(VALU_DEP_2) | instskip(NEXT) | instid1(VALU_DEP_2)
	v_cmp_gt_f32_e32 vcc_lo, 0xf800000, v7
	v_add_nc_u32_e32 v11, -1, v6
	s_delay_alu instid0(VALU_DEP_1) | instskip(NEXT) | instid1(VALU_DEP_1)
	v_cvt_f32_u32_e32 v11, v11
	v_pk_fma_f32 v[8:9], v[10:11], s[4:5], 0 op_sel_hi:[1,0,0]
	v_mul_f32_e32 v10, 0x4f800000, v7
	s_add_co_i32 s5, s5, -2
	s_delay_alu instid0(SALU_CYCLE_1) | instskip(NEXT) | instid1(VALU_DEP_2)
	s_cmp_lg_u32 s5, 0
	v_pk_mul_f32 v[8:9], v[8:9], v[8:9]
	s_delay_alu instid0(VALU_DEP_1) | instskip(NEXT) | instid1(VALU_DEP_1)
	v_dual_add_f32 v8, v8, v9 :: v_dual_cndmask_b32 v7, v7, v10
	v_mul_f32_e32 v10, 0x4f800000, v8
	s_delay_alu instid0(VALU_DEP_2)
	v_sqrt_f32_e32 v9, v7
	v_cmp_gt_f32_e64 s2, 0xf800000, v8
	s_delay_alu instid0(TRANS32_DEP_1) | instid1(VALU_DEP_1)
	v_dual_cndmask_b32 v8, v8, v10, s2 :: v_dual_add_nc_u32 v11, -1, v9
	v_add_nc_u32_e32 v10, 1, v9
	s_delay_alu instid0(VALU_DEP_2) | instskip(NEXT) | instid1(VALU_DEP_2)
	v_sqrt_f32_e32 v14, v8
	v_fma_f32 v13, -v11, v9, v7
	s_delay_alu instid0(VALU_DEP_1) | instskip(NEXT) | instid1(VALU_DEP_1)
	v_cmp_ge_f32_e64 s3, 0, v13
	v_dual_fma_f32 v15, -v10, v9, v7 :: v_dual_cndmask_b32 v9, v9, v11, s3
	s_delay_alu instid0(VALU_DEP_1) | instskip(NEXT) | instid1(TRANS32_DEP_1)
	v_cmp_lt_f32_e64 s3, 0, v15
	v_add_nc_u32_e32 v11, -1, v14
	s_delay_alu instid0(VALU_DEP_2) | instskip(NEXT) | instid1(VALU_DEP_2)
	v_cndmask_b32_e64 v9, v9, v10, s3
	v_dual_add_nc_u32 v10, 1, v14 :: v_dual_fma_f32 v13, -v11, v14, v8
	s_delay_alu instid0(VALU_DEP_1) | instskip(NEXT) | instid1(VALU_DEP_2)
	v_fma_f32 v16, -v10, v14, v8
	v_cmp_ge_f32_e64 s3, 0, v13
	s_delay_alu instid0(VALU_DEP_1) | instskip(SKIP_1) | instid1(VALU_DEP_4)
	v_cndmask_b32_e64 v11, v14, v11, s3
	v_mul_f32_e32 v15, 0x37800000, v9
	v_cmp_lt_f32_e64 s3, 0, v16
	s_delay_alu instid0(VALU_DEP_1) | instskip(SKIP_1) | instid1(VALU_DEP_2)
	v_dual_cndmask_b32 v9, v9, v15, vcc_lo :: v_dual_cndmask_b32 v10, v11, v10, s3
	v_cmp_class_f32_e64 vcc_lo, v7, 0x260
	v_cndmask_b32_e32 v7, v9, v7, vcc_lo
	s_delay_alu instid0(VALU_DEP_3) | instskip(NEXT) | instid1(VALU_DEP_2)
	v_mul_f32_e32 v9, 0x37800000, v10
	v_cmp_nge_f32_e32 vcc_lo, 1.0, v7
	s_delay_alu instid0(VALU_DEP_2) | instskip(SKIP_2) | instid1(VALU_DEP_1)
	v_cndmask_b32_e64 v7, v10, v9, s2
	v_cndmask_b32_e32 v5, v12, v5, vcc_lo
	v_cmp_class_f32_e64 vcc_lo, v8, 0x260
	v_dual_add_f32 v9, 1.0, v5 :: v_dual_cndmask_b32 v7, v7, v8, vcc_lo
	s_delay_alu instid0(VALU_DEP_1) | instskip(NEXT) | instid1(VALU_DEP_2)
	v_cmp_nge_f32_e32 vcc_lo, 1.0, v7
	v_cndmask_b32_e32 v5, v9, v5, vcc_lo
	s_cbranch_scc1 .LBB27_88
; %bb.89:
	v_add_nc_u32_e32 v6, 0x7f156116, v4
	s_movk_i32 s5, 0x2710
	s_brev_b32 s4, 12
	s_delay_alu instid0(VALU_DEP_1) | instskip(NEXT) | instid1(VALU_DEP_1)
	v_lshrrev_b32_e32 v7, 19, v6
	v_xor3_b32 v6, v6, v7, 0xc761c23c
	s_delay_alu instid0(VALU_DEP_1) | instskip(NEXT) | instid1(VALU_DEP_1)
	v_lshl_add_u32 v6, v6, 5, v6
	v_add_nc_u32_e32 v7, 0xe9f8cc1d, v6
	v_lshl_add_u32 v6, v6, 9, 0xaccf6200
	s_delay_alu instid0(VALU_DEP_1) | instskip(NEXT) | instid1(VALU_DEP_1)
	v_xor_b32_e32 v6, v7, v6
	v_lshlrev_b32_e32 v7, 3, v6
	s_delay_alu instid0(VALU_DEP_1) | instskip(NEXT) | instid1(VALU_DEP_1)
	v_add3_u32 v6, v6, v7, 0xfd7046c5
	v_lshrrev_b32_e32 v7, 16, v6
	s_delay_alu instid0(VALU_DEP_1) | instskip(NEXT) | instid1(VALU_DEP_1)
	v_xor3_b32 v6, v6, v7, 0xb55a4f09
	v_mul_hi_u32 v7, v6, 3
	s_delay_alu instid0(VALU_DEP_1) | instskip(NEXT) | instid1(VALU_DEP_1)
	v_sub_nc_u32_e32 v8, v6, v7
	v_lshrrev_b32_e32 v8, 1, v8
	s_delay_alu instid0(VALU_DEP_1) | instskip(NEXT) | instid1(VALU_DEP_1)
	v_add_nc_u32_e32 v7, v8, v7
	v_lshrrev_b32_e32 v7, 30, v7
	s_delay_alu instid0(VALU_DEP_1) | instskip(NEXT) | instid1(VALU_DEP_1)
	v_mul_lo_u32 v7, 0x7fffffff, v7
	v_sub_nc_u32_e32 v6, v6, v7
	s_delay_alu instid0(VALU_DEP_1)
	v_max_u32_e32 v7, 1, v6
	v_mov_b32_e32 v6, 0
.LBB27_90:                              ; =>This Inner Loop Header: Depth=1
	s_delay_alu instid0(VALU_DEP_2) | instskip(NEXT) | instid1(VALU_DEP_1)
	v_mul_hi_u32 v8, 0xbc8f1391, v7
	v_lshrrev_b32_e32 v8, 15, v8
	s_delay_alu instid0(VALU_DEP_1) | instskip(NEXT) | instid1(VALU_DEP_1)
	v_mul_u32_u24_e32 v9, 0xadc8, v8
	v_sub_nc_u32_e32 v7, v7, v9
	v_mul_u32_u24_e32 v8, 0xd47, v8
	s_delay_alu instid0(VALU_DEP_2) | instskip(NEXT) | instid1(VALU_DEP_2)
	v_mul_lo_u32 v7, 0xbc8f, v7
	v_xor_b32_e32 v9, 0x7fffffff, v8
	v_sub_nc_u32_e32 v10, 0, v8
	s_delay_alu instid0(VALU_DEP_3) | instskip(NEXT) | instid1(VALU_DEP_2)
	v_cmp_lt_u32_e32 vcc_lo, v7, v8
	v_cndmask_b32_e32 v8, v10, v9, vcc_lo
	s_delay_alu instid0(VALU_DEP_1) | instskip(NEXT) | instid1(VALU_DEP_1)
	v_add_nc_u32_e32 v7, v8, v7
	v_mul_hi_u32 v8, 0xbc8f1391, v7
	s_delay_alu instid0(VALU_DEP_1) | instskip(NEXT) | instid1(VALU_DEP_1)
	v_lshrrev_b32_e32 v8, 15, v8
	v_mul_u32_u24_e32 v9, 0xadc8, v8
	v_mul_u32_u24_e32 v8, 0xd47, v8
	s_delay_alu instid0(VALU_DEP_2) | instskip(NEXT) | instid1(VALU_DEP_2)
	v_sub_nc_u32_e32 v9, v7, v9
	v_xor_b32_e32 v10, 0x7fffffff, v8
	v_add_nc_u32_e32 v7, -1, v7
	s_delay_alu instid0(VALU_DEP_3) | instskip(SKIP_1) | instid1(VALU_DEP_2)
	v_mul_lo_u32 v9, 0xbc8f, v9
	v_sub_nc_u32_e32 v11, 0, v8
	v_cmp_lt_u32_e32 vcc_lo, v9, v8
	s_delay_alu instid0(VALU_DEP_2) | instskip(NEXT) | instid1(VALU_DEP_1)
	v_cndmask_b32_e32 v8, v11, v10, vcc_lo
	v_add_nc_u32_e32 v9, v8, v9
	s_delay_alu instid0(VALU_DEP_1) | instskip(NEXT) | instid1(VALU_DEP_1)
	v_mul_hi_u32 v8, 0xbc8f1391, v9
	v_lshrrev_b32_e32 v8, 15, v8
	s_delay_alu instid0(VALU_DEP_1) | instskip(SKIP_1) | instid1(VALU_DEP_2)
	v_mul_u32_u24_e32 v10, 0xadc8, v8
	v_mul_u32_u24_e32 v8, 0xd47, v8
	v_sub_nc_u32_e32 v10, v9, v10
	s_delay_alu instid0(VALU_DEP_2) | instskip(NEXT) | instid1(VALU_DEP_2)
	v_xor_b32_e32 v11, 0x7fffffff, v8
	v_mul_lo_u32 v10, 0xbc8f, v10
	v_sub_nc_u32_e32 v12, 0, v8
	s_delay_alu instid0(VALU_DEP_2) | instskip(NEXT) | instid1(VALU_DEP_2)
	v_cmp_lt_u32_e32 vcc_lo, v10, v8
	v_dual_cndmask_b32 v8, v12, v11, vcc_lo :: v_dual_add_f32 v12, 1.0, v6
	s_delay_alu instid0(VALU_DEP_1) | instskip(NEXT) | instid1(VALU_DEP_1)
	v_add_nc_u32_e32 v10, v8, v10
	v_mul_hi_u32 v8, 0xbc8f1391, v10
	s_delay_alu instid0(VALU_DEP_1) | instskip(NEXT) | instid1(VALU_DEP_1)
	v_lshrrev_b32_e32 v8, 15, v8
	v_mul_u32_u24_e32 v11, 0xadc8, v8
	v_mul_u32_u24_e32 v13, 0xd47, v8
	v_cvt_f32_u32_e32 v8, v7
	s_delay_alu instid0(VALU_DEP_3) | instskip(NEXT) | instid1(VALU_DEP_3)
	v_sub_nc_u32_e32 v11, v10, v11
	v_xor_b32_e32 v7, 0x7fffffff, v13
	v_dual_sub_nc_u32 v14, 0, v13 :: v_dual_add_nc_u32 v10, -1, v10
	s_delay_alu instid0(VALU_DEP_3) | instskip(NEXT) | instid1(VALU_DEP_2)
	v_mul_lo_u32 v11, 0xbc8f, v11
	v_cvt_f32_u32_e32 v10, v10
	s_delay_alu instid0(VALU_DEP_2) | instskip(NEXT) | instid1(VALU_DEP_4)
	v_cmp_lt_u32_e32 vcc_lo, v11, v13
	v_dual_add_nc_u32 v9, -1, v9 :: v_dual_cndmask_b32 v7, v14, v7, vcc_lo
	s_delay_alu instid0(VALU_DEP_1) | instskip(NEXT) | instid1(VALU_DEP_2)
	v_cvt_f32_u32_e32 v9, v9
	v_add_nc_u32_e32 v7, v7, v11
	s_delay_alu instid0(VALU_DEP_2) | instskip(NEXT) | instid1(VALU_DEP_1)
	v_pk_fma_f32 v[8:9], v[8:9], s[4:5], 0 op_sel_hi:[1,0,0]
	v_pk_mul_f32 v[8:9], v[8:9], v[8:9]
	s_delay_alu instid0(VALU_DEP_1) | instskip(NEXT) | instid1(VALU_DEP_1)
	v_dual_add_nc_u32 v11, -1, v7 :: v_dual_add_f32 v13, v8, v9
	v_cvt_f32_u32_e32 v11, v11
	s_delay_alu instid0(VALU_DEP_2) | instskip(NEXT) | instid1(VALU_DEP_2)
	v_cmp_gt_f32_e32 vcc_lo, 0xf800000, v13
	v_pk_fma_f32 v[8:9], v[10:11], s[4:5], 0 op_sel_hi:[1,0,0]
	s_add_co_i32 s5, s5, -2
	s_delay_alu instid0(SALU_CYCLE_1) | instskip(NEXT) | instid1(VALU_DEP_1)
	s_cmp_lg_u32 s5, 0
	v_pk_mul_f32 v[8:9], v[8:9], v[8:9]
	s_delay_alu instid0(VALU_DEP_1) | instskip(NEXT) | instid1(VALU_DEP_1)
	v_add_f32_e32 v8, v8, v9
	v_dual_mul_f32 v10, 0x4f800000, v13 :: v_dual_mul_f32 v11, 0x4f800000, v8
	s_delay_alu instid0(VALU_DEP_1) | instskip(SKIP_1) | instid1(VALU_DEP_2)
	v_cndmask_b32_e32 v10, v13, v10, vcc_lo
	v_cmp_gt_f32_e64 s2, 0xf800000, v8
	v_sqrt_f32_e32 v9, v10
	v_nop
	s_delay_alu instid0(TRANS32_DEP_1) | instskip(NEXT) | instid1(VALU_DEP_1)
	v_dual_add_nc_u32 v13, -1, v9 :: v_dual_cndmask_b32 v8, v8, v11, s2
	v_dual_add_nc_u32 v11, 1, v9 :: v_dual_fma_f32 v14, -v13, v9, v10
	s_delay_alu instid0(VALU_DEP_2) | instskip(NEXT) | instid1(VALU_DEP_1)
	v_sqrt_f32_e32 v15, v8
	v_fma_f32 v16, -v11, v9, v10
	s_delay_alu instid0(VALU_DEP_2)
	v_cmp_ge_f32_e64 s3, 0, v14
	s_delay_alu instid0(TRANS32_DEP_1) | instid1(VALU_DEP_1)
	v_dual_cndmask_b32 v9, v9, v13, s3 :: v_dual_add_nc_u32 v13, -1, v15
	s_delay_alu instid0(VALU_DEP_3) | instskip(NEXT) | instid1(VALU_DEP_1)
	v_cmp_lt_f32_e64 s3, 0, v16
	v_cndmask_b32_e64 v9, v9, v11, s3
	s_delay_alu instid0(VALU_DEP_3) | instskip(NEXT) | instid1(VALU_DEP_1)
	v_dual_add_nc_u32 v11, 1, v15 :: v_dual_fma_f32 v14, -v13, v15, v8
	v_fma_f32 v17, -v11, v15, v8
	s_delay_alu instid0(VALU_DEP_2) | instskip(NEXT) | instid1(VALU_DEP_1)
	v_cmp_ge_f32_e64 s3, 0, v14
	v_cndmask_b32_e64 v13, v15, v13, s3
	v_mul_f32_e32 v16, 0x37800000, v9
	s_delay_alu instid0(VALU_DEP_4) | instskip(NEXT) | instid1(VALU_DEP_1)
	v_cmp_lt_f32_e64 s3, 0, v17
	v_cndmask_b32_e64 v11, v13, v11, s3
	s_delay_alu instid0(VALU_DEP_3) | instskip(SKIP_1) | instid1(VALU_DEP_2)
	v_cndmask_b32_e32 v9, v9, v16, vcc_lo
	v_cmp_class_f32_e64 vcc_lo, v10, 0x260
	v_cndmask_b32_e32 v9, v9, v10, vcc_lo
	s_delay_alu instid0(VALU_DEP_1) | instskip(SKIP_3) | instid1(VALU_DEP_2)
	v_cmp_nge_f32_e32 vcc_lo, 1.0, v9
	v_cndmask_b32_e32 v6, v12, v6, vcc_lo
	v_mul_f32_e32 v10, 0x37800000, v11
	v_cmp_class_f32_e64 vcc_lo, v8, 0x260
	v_cndmask_b32_e64 v9, v11, v10, s2
	s_delay_alu instid0(VALU_DEP_1) | instskip(NEXT) | instid1(VALU_DEP_1)
	v_dual_add_f32 v10, 1.0, v6 :: v_dual_cndmask_b32 v8, v9, v8, vcc_lo
	v_cmp_nge_f32_e32 vcc_lo, 1.0, v8
	s_delay_alu instid0(VALU_DEP_2)
	v_cndmask_b32_e32 v6, v10, v6, vcc_lo
	s_cbranch_scc1 .LBB27_90
; %bb.91:
	v_add_nc_u32_e32 v7, 0x7f256216, v4
	s_movk_i32 s5, 0x2710
	s_brev_b32 s4, 12
	s_delay_alu instid0(VALU_DEP_1) | instskip(NEXT) | instid1(VALU_DEP_1)
	v_lshrrev_b32_e32 v8, 19, v7
	v_xor3_b32 v7, v7, v8, 0xc761c23c
	s_delay_alu instid0(VALU_DEP_1) | instskip(NEXT) | instid1(VALU_DEP_1)
	v_lshl_add_u32 v7, v7, 5, v7
	v_add_nc_u32_e32 v8, 0xe9f8cc1d, v7
	v_lshl_add_u32 v7, v7, 9, 0xaccf6200
	s_delay_alu instid0(VALU_DEP_1) | instskip(NEXT) | instid1(VALU_DEP_1)
	v_xor_b32_e32 v7, v8, v7
	v_lshlrev_b32_e32 v8, 3, v7
	s_delay_alu instid0(VALU_DEP_1) | instskip(NEXT) | instid1(VALU_DEP_1)
	v_add3_u32 v7, v7, v8, 0xfd7046c5
	v_lshrrev_b32_e32 v8, 16, v7
	s_delay_alu instid0(VALU_DEP_1) | instskip(NEXT) | instid1(VALU_DEP_1)
	v_xor3_b32 v7, v7, v8, 0xb55a4f09
	v_mul_hi_u32 v8, v7, 3
	s_delay_alu instid0(VALU_DEP_1) | instskip(NEXT) | instid1(VALU_DEP_1)
	v_sub_nc_u32_e32 v9, v7, v8
	v_lshrrev_b32_e32 v9, 1, v9
	s_delay_alu instid0(VALU_DEP_1) | instskip(NEXT) | instid1(VALU_DEP_1)
	v_add_nc_u32_e32 v8, v9, v8
	v_lshrrev_b32_e32 v8, 30, v8
	s_delay_alu instid0(VALU_DEP_1) | instskip(NEXT) | instid1(VALU_DEP_1)
	v_mul_lo_u32 v8, 0x7fffffff, v8
	v_sub_nc_u32_e32 v7, v7, v8
	s_delay_alu instid0(VALU_DEP_1)
	v_max_u32_e32 v8, 1, v7
	v_mov_b32_e32 v7, 0
.LBB27_92:                              ; =>This Inner Loop Header: Depth=1
	s_delay_alu instid0(VALU_DEP_2) | instskip(NEXT) | instid1(VALU_DEP_1)
	v_mul_hi_u32 v9, 0xbc8f1391, v8
	v_dual_add_f32 v14, 1.0, v7 :: v_dual_lshrrev_b32 v9, 15, v9
	s_delay_alu instid0(VALU_DEP_1) | instskip(NEXT) | instid1(VALU_DEP_1)
	v_mul_u32_u24_e32 v10, 0xadc8, v9
	v_sub_nc_u32_e32 v8, v8, v10
	v_mul_u32_u24_e32 v9, 0xd47, v9
	s_delay_alu instid0(VALU_DEP_2) | instskip(NEXT) | instid1(VALU_DEP_2)
	v_mul_lo_u32 v8, 0xbc8f, v8
	v_xor_b32_e32 v10, 0x7fffffff, v9
	v_sub_nc_u32_e32 v11, 0, v9
	s_delay_alu instid0(VALU_DEP_3) | instskip(NEXT) | instid1(VALU_DEP_2)
	v_cmp_lt_u32_e32 vcc_lo, v8, v9
	v_cndmask_b32_e32 v9, v11, v10, vcc_lo
	s_delay_alu instid0(VALU_DEP_1) | instskip(NEXT) | instid1(VALU_DEP_1)
	v_add_nc_u32_e32 v8, v9, v8
	v_mul_hi_u32 v9, 0xbc8f1391, v8
	s_delay_alu instid0(VALU_DEP_1) | instskip(NEXT) | instid1(VALU_DEP_1)
	v_lshrrev_b32_e32 v9, 15, v9
	v_mul_u32_u24_e32 v10, 0xadc8, v9
	v_mul_u32_u24_e32 v9, 0xd47, v9
	s_delay_alu instid0(VALU_DEP_2) | instskip(NEXT) | instid1(VALU_DEP_2)
	v_sub_nc_u32_e32 v10, v8, v10
	v_xor_b32_e32 v11, 0x7fffffff, v9
	v_add_nc_u32_e32 v8, -1, v8
	s_delay_alu instid0(VALU_DEP_3) | instskip(SKIP_1) | instid1(VALU_DEP_2)
	v_mul_lo_u32 v10, 0xbc8f, v10
	v_sub_nc_u32_e32 v12, 0, v9
	v_cmp_lt_u32_e32 vcc_lo, v10, v9
	s_delay_alu instid0(VALU_DEP_2) | instskip(NEXT) | instid1(VALU_DEP_1)
	v_cndmask_b32_e32 v9, v12, v11, vcc_lo
	v_add_nc_u32_e32 v9, v9, v10
	s_delay_alu instid0(VALU_DEP_1) | instskip(NEXT) | instid1(VALU_DEP_1)
	v_mul_hi_u32 v10, 0xbc8f1391, v9
	v_lshrrev_b32_e32 v10, 15, v10
	s_delay_alu instid0(VALU_DEP_1) | instskip(SKIP_1) | instid1(VALU_DEP_2)
	v_mul_u32_u24_e32 v11, 0xadc8, v10
	v_mul_u32_u24_e32 v10, 0xd47, v10
	v_sub_nc_u32_e32 v11, v9, v11
	s_delay_alu instid0(VALU_DEP_2) | instskip(SKIP_1) | instid1(VALU_DEP_3)
	v_xor_b32_e32 v12, 0x7fffffff, v10
	v_dual_sub_nc_u32 v13, 0, v10 :: v_dual_add_nc_u32 v9, -1, v9
	v_mul_lo_u32 v11, 0xbc8f, v11
	s_delay_alu instid0(VALU_DEP_1) | instskip(NEXT) | instid1(VALU_DEP_3)
	v_cmp_lt_u32_e32 vcc_lo, v11, v10
	v_cndmask_b32_e32 v10, v13, v12, vcc_lo
	s_delay_alu instid0(VALU_DEP_1) | instskip(NEXT) | instid1(VALU_DEP_1)
	v_add_nc_u32_e32 v12, v10, v11
	v_mul_hi_u32 v10, 0xbc8f1391, v12
	s_delay_alu instid0(VALU_DEP_1) | instskip(NEXT) | instid1(VALU_DEP_1)
	v_lshrrev_b32_e32 v10, 15, v10
	v_mul_u32_u24_e32 v11, 0xadc8, v10
	s_delay_alu instid0(VALU_DEP_1) | instskip(NEXT) | instid1(VALU_DEP_1)
	v_sub_nc_u32_e32 v11, v12, v11
	v_mul_lo_u32 v13, 0xbc8f, v11
	v_mul_u32_u24_e32 v11, 0xd47, v10
	v_cvt_f32_u32_e32 v10, v8
	s_delay_alu instid0(VALU_DEP_2) | instskip(SKIP_4) | instid1(VALU_DEP_2)
	v_xor_b32_e32 v8, 0x7fffffff, v11
	v_sub_nc_u32_e32 v15, 0, v11
	v_cmp_lt_u32_e32 vcc_lo, v13, v11
	v_cvt_f32_u32_e32 v11, v9
	v_add_nc_u32_e32 v9, -1, v12
	v_pk_fma_f32 v[10:11], v[10:11], s[4:5], 0 op_sel_hi:[1,0,0]
	s_delay_alu instid0(VALU_DEP_2) | instskip(NEXT) | instid1(VALU_DEP_2)
	v_cvt_f32_u32_e32 v12, v9
	v_pk_mul_f32 v[10:11], v[10:11], v[10:11]
	s_delay_alu instid0(VALU_DEP_1) | instskip(NEXT) | instid1(VALU_DEP_1)
	v_dual_cndmask_b32 v8, v15, v8 :: v_dual_add_f32 v9, v10, v11
	v_add_nc_u32_e32 v8, v8, v13
	s_delay_alu instid0(VALU_DEP_2) | instskip(NEXT) | instid1(VALU_DEP_2)
	v_cmp_gt_f32_e32 vcc_lo, 0xf800000, v9
	v_add_nc_u32_e32 v13, -1, v8
	s_delay_alu instid0(VALU_DEP_1) | instskip(NEXT) | instid1(VALU_DEP_1)
	v_cvt_f32_u32_e32 v13, v13
	v_pk_fma_f32 v[10:11], v[12:13], s[4:5], 0 op_sel_hi:[1,0,0]
	v_mul_f32_e32 v12, 0x4f800000, v9
	s_add_co_i32 s5, s5, -2
	s_delay_alu instid0(SALU_CYCLE_1) | instskip(NEXT) | instid1(VALU_DEP_2)
	s_cmp_lg_u32 s5, 0
	v_pk_mul_f32 v[10:11], v[10:11], v[10:11]
	s_delay_alu instid0(VALU_DEP_1) | instskip(NEXT) | instid1(VALU_DEP_1)
	v_dual_add_f32 v10, v10, v11 :: v_dual_cndmask_b32 v9, v9, v12
	v_mul_f32_e32 v12, 0x4f800000, v10
	s_delay_alu instid0(VALU_DEP_2)
	v_sqrt_f32_e32 v11, v9
	v_cmp_gt_f32_e64 s2, 0xf800000, v10
	s_delay_alu instid0(TRANS32_DEP_1) | instid1(VALU_DEP_1)
	v_dual_cndmask_b32 v10, v10, v12, s2 :: v_dual_add_nc_u32 v13, -1, v11
	v_add_nc_u32_e32 v12, 1, v11
	s_delay_alu instid0(VALU_DEP_2) | instskip(NEXT) | instid1(VALU_DEP_2)
	v_sqrt_f32_e32 v16, v10
	v_fma_f32 v15, -v13, v11, v9
	s_delay_alu instid0(VALU_DEP_1) | instskip(NEXT) | instid1(VALU_DEP_1)
	v_cmp_ge_f32_e64 s3, 0, v15
	v_dual_fma_f32 v17, -v12, v11, v9 :: v_dual_cndmask_b32 v11, v11, v13, s3
	s_delay_alu instid0(VALU_DEP_1) | instskip(NEXT) | instid1(TRANS32_DEP_1)
	v_cmp_lt_f32_e64 s3, 0, v17
	v_add_nc_u32_e32 v13, -1, v16
	s_delay_alu instid0(VALU_DEP_2) | instskip(NEXT) | instid1(VALU_DEP_2)
	v_cndmask_b32_e64 v11, v11, v12, s3
	v_dual_add_nc_u32 v12, 1, v16 :: v_dual_fma_f32 v15, -v13, v16, v10
	s_delay_alu instid0(VALU_DEP_1) | instskip(NEXT) | instid1(VALU_DEP_2)
	v_fma_f32 v18, -v12, v16, v10
	v_cmp_ge_f32_e64 s3, 0, v15
	s_delay_alu instid0(VALU_DEP_1) | instskip(SKIP_1) | instid1(VALU_DEP_4)
	v_cndmask_b32_e64 v13, v16, v13, s3
	v_mul_f32_e32 v17, 0x37800000, v11
	v_cmp_lt_f32_e64 s3, 0, v18
	s_delay_alu instid0(VALU_DEP_1) | instskip(SKIP_1) | instid1(VALU_DEP_2)
	v_dual_cndmask_b32 v11, v11, v17, vcc_lo :: v_dual_cndmask_b32 v12, v13, v12, s3
	v_cmp_class_f32_e64 vcc_lo, v9, 0x260
	v_cndmask_b32_e32 v9, v11, v9, vcc_lo
	s_delay_alu instid0(VALU_DEP_3) | instskip(NEXT) | instid1(VALU_DEP_2)
	v_mul_f32_e32 v11, 0x37800000, v12
	v_cmp_nge_f32_e32 vcc_lo, 1.0, v9
	s_delay_alu instid0(VALU_DEP_2) | instskip(SKIP_2) | instid1(VALU_DEP_1)
	v_cndmask_b32_e64 v9, v12, v11, s2
	v_cndmask_b32_e32 v7, v14, v7, vcc_lo
	v_cmp_class_f32_e64 vcc_lo, v10, 0x260
	v_dual_add_f32 v11, 1.0, v7 :: v_dual_cndmask_b32 v9, v9, v10, vcc_lo
	s_delay_alu instid0(VALU_DEP_1) | instskip(NEXT) | instid1(VALU_DEP_2)
	v_cmp_nge_f32_e32 vcc_lo, 1.0, v9
	v_cndmask_b32_e32 v7, v11, v7, vcc_lo
	s_cbranch_scc1 .LBB27_92
; %bb.93:
	v_add_nc_u32_e32 v8, 0x7f356316, v4
	s_movk_i32 s5, 0x2710
	s_brev_b32 s4, 12
	s_delay_alu instid0(VALU_DEP_1) | instskip(NEXT) | instid1(VALU_DEP_1)
	v_lshrrev_b32_e32 v9, 19, v8
	v_xor3_b32 v8, v8, v9, 0xc761c23c
	s_delay_alu instid0(VALU_DEP_1) | instskip(NEXT) | instid1(VALU_DEP_1)
	v_lshl_add_u32 v8, v8, 5, v8
	v_add_nc_u32_e32 v9, 0xe9f8cc1d, v8
	v_lshl_add_u32 v8, v8, 9, 0xaccf6200
	s_delay_alu instid0(VALU_DEP_1) | instskip(NEXT) | instid1(VALU_DEP_1)
	v_xor_b32_e32 v8, v9, v8
	v_lshlrev_b32_e32 v9, 3, v8
	s_delay_alu instid0(VALU_DEP_1) | instskip(NEXT) | instid1(VALU_DEP_1)
	v_add3_u32 v8, v8, v9, 0xfd7046c5
	v_lshrrev_b32_e32 v9, 16, v8
	s_delay_alu instid0(VALU_DEP_1) | instskip(NEXT) | instid1(VALU_DEP_1)
	v_xor3_b32 v8, v8, v9, 0xb55a4f09
	v_mul_hi_u32 v9, v8, 3
	s_delay_alu instid0(VALU_DEP_1) | instskip(NEXT) | instid1(VALU_DEP_1)
	v_sub_nc_u32_e32 v10, v8, v9
	v_lshrrev_b32_e32 v10, 1, v10
	s_delay_alu instid0(VALU_DEP_1) | instskip(NEXT) | instid1(VALU_DEP_1)
	v_add_nc_u32_e32 v9, v10, v9
	v_lshrrev_b32_e32 v9, 30, v9
	s_delay_alu instid0(VALU_DEP_1) | instskip(NEXT) | instid1(VALU_DEP_1)
	v_mul_lo_u32 v9, 0x7fffffff, v9
	v_sub_nc_u32_e32 v8, v8, v9
	s_delay_alu instid0(VALU_DEP_1)
	v_max_u32_e32 v9, 1, v8
	v_mov_b32_e32 v8, 0
.LBB27_94:                              ; =>This Inner Loop Header: Depth=1
	s_delay_alu instid0(VALU_DEP_2) | instskip(NEXT) | instid1(VALU_DEP_1)
	v_mul_hi_u32 v10, 0xbc8f1391, v9
	v_lshrrev_b32_e32 v10, 15, v10
	s_delay_alu instid0(VALU_DEP_1) | instskip(NEXT) | instid1(VALU_DEP_1)
	v_mul_u32_u24_e32 v11, 0xadc8, v10
	v_sub_nc_u32_e32 v9, v9, v11
	v_mul_u32_u24_e32 v10, 0xd47, v10
	s_delay_alu instid0(VALU_DEP_2) | instskip(NEXT) | instid1(VALU_DEP_2)
	v_mul_lo_u32 v9, 0xbc8f, v9
	v_xor_b32_e32 v11, 0x7fffffff, v10
	v_sub_nc_u32_e32 v12, 0, v10
	s_delay_alu instid0(VALU_DEP_3) | instskip(NEXT) | instid1(VALU_DEP_2)
	v_cmp_lt_u32_e32 vcc_lo, v9, v10
	v_cndmask_b32_e32 v10, v12, v11, vcc_lo
	s_delay_alu instid0(VALU_DEP_1) | instskip(NEXT) | instid1(VALU_DEP_1)
	v_add_nc_u32_e32 v9, v10, v9
	v_mul_hi_u32 v10, 0xbc8f1391, v9
	s_delay_alu instid0(VALU_DEP_1) | instskip(NEXT) | instid1(VALU_DEP_1)
	v_lshrrev_b32_e32 v10, 15, v10
	v_mul_u32_u24_e32 v11, 0xadc8, v10
	v_mul_u32_u24_e32 v10, 0xd47, v10
	s_delay_alu instid0(VALU_DEP_2) | instskip(NEXT) | instid1(VALU_DEP_2)
	v_sub_nc_u32_e32 v11, v9, v11
	v_xor_b32_e32 v12, 0x7fffffff, v10
	v_add_nc_u32_e32 v9, -1, v9
	s_delay_alu instid0(VALU_DEP_3) | instskip(SKIP_1) | instid1(VALU_DEP_2)
	v_mul_lo_u32 v11, 0xbc8f, v11
	v_sub_nc_u32_e32 v13, 0, v10
	v_cmp_lt_u32_e32 vcc_lo, v11, v10
	s_delay_alu instid0(VALU_DEP_2) | instskip(NEXT) | instid1(VALU_DEP_1)
	v_cndmask_b32_e32 v10, v13, v12, vcc_lo
	v_add_nc_u32_e32 v11, v10, v11
	s_delay_alu instid0(VALU_DEP_1) | instskip(NEXT) | instid1(VALU_DEP_1)
	v_mul_hi_u32 v10, 0xbc8f1391, v11
	v_lshrrev_b32_e32 v10, 15, v10
	s_delay_alu instid0(VALU_DEP_1) | instskip(SKIP_1) | instid1(VALU_DEP_2)
	v_mul_u32_u24_e32 v12, 0xadc8, v10
	v_mul_u32_u24_e32 v10, 0xd47, v10
	v_sub_nc_u32_e32 v12, v11, v12
	s_delay_alu instid0(VALU_DEP_2) | instskip(NEXT) | instid1(VALU_DEP_2)
	v_xor_b32_e32 v13, 0x7fffffff, v10
	v_mul_lo_u32 v12, 0xbc8f, v12
	v_sub_nc_u32_e32 v14, 0, v10
	s_delay_alu instid0(VALU_DEP_2) | instskip(NEXT) | instid1(VALU_DEP_2)
	v_cmp_lt_u32_e32 vcc_lo, v12, v10
	v_dual_cndmask_b32 v10, v14, v13, vcc_lo :: v_dual_add_f32 v14, 1.0, v8
	s_delay_alu instid0(VALU_DEP_1) | instskip(NEXT) | instid1(VALU_DEP_1)
	v_add_nc_u32_e32 v12, v10, v12
	v_mul_hi_u32 v10, 0xbc8f1391, v12
	s_delay_alu instid0(VALU_DEP_1) | instskip(NEXT) | instid1(VALU_DEP_1)
	v_lshrrev_b32_e32 v10, 15, v10
	v_mul_u32_u24_e32 v13, 0xadc8, v10
	v_mul_u32_u24_e32 v15, 0xd47, v10
	v_cvt_f32_u32_e32 v10, v9
	s_delay_alu instid0(VALU_DEP_3) | instskip(NEXT) | instid1(VALU_DEP_3)
	v_sub_nc_u32_e32 v13, v12, v13
	v_xor_b32_e32 v9, 0x7fffffff, v15
	v_dual_sub_nc_u32 v16, 0, v15 :: v_dual_add_nc_u32 v12, -1, v12
	s_delay_alu instid0(VALU_DEP_3) | instskip(NEXT) | instid1(VALU_DEP_2)
	v_mul_lo_u32 v13, 0xbc8f, v13
	v_cvt_f32_u32_e32 v12, v12
	s_delay_alu instid0(VALU_DEP_2) | instskip(NEXT) | instid1(VALU_DEP_4)
	v_cmp_lt_u32_e32 vcc_lo, v13, v15
	v_dual_add_nc_u32 v11, -1, v11 :: v_dual_cndmask_b32 v9, v16, v9, vcc_lo
	s_delay_alu instid0(VALU_DEP_1) | instskip(NEXT) | instid1(VALU_DEP_2)
	v_cvt_f32_u32_e32 v11, v11
	v_add_nc_u32_e32 v9, v9, v13
	s_delay_alu instid0(VALU_DEP_2) | instskip(NEXT) | instid1(VALU_DEP_1)
	v_pk_fma_f32 v[10:11], v[10:11], s[4:5], 0 op_sel_hi:[1,0,0]
	v_pk_mul_f32 v[10:11], v[10:11], v[10:11]
	s_delay_alu instid0(VALU_DEP_1) | instskip(NEXT) | instid1(VALU_DEP_1)
	v_dual_add_nc_u32 v13, -1, v9 :: v_dual_add_f32 v15, v10, v11
	v_cvt_f32_u32_e32 v13, v13
	s_delay_alu instid0(VALU_DEP_2) | instskip(NEXT) | instid1(VALU_DEP_2)
	v_cmp_gt_f32_e32 vcc_lo, 0xf800000, v15
	v_pk_fma_f32 v[10:11], v[12:13], s[4:5], 0 op_sel_hi:[1,0,0]
	s_add_co_i32 s5, s5, -2
	s_delay_alu instid0(SALU_CYCLE_1) | instskip(NEXT) | instid1(VALU_DEP_1)
	s_cmp_lg_u32 s5, 0
	v_pk_mul_f32 v[10:11], v[10:11], v[10:11]
	s_delay_alu instid0(VALU_DEP_1) | instskip(NEXT) | instid1(VALU_DEP_1)
	v_add_f32_e32 v10, v10, v11
	v_dual_mul_f32 v12, 0x4f800000, v15 :: v_dual_mul_f32 v13, 0x4f800000, v10
	s_delay_alu instid0(VALU_DEP_1) | instskip(SKIP_1) | instid1(VALU_DEP_2)
	v_cndmask_b32_e32 v12, v15, v12, vcc_lo
	v_cmp_gt_f32_e64 s2, 0xf800000, v10
	v_sqrt_f32_e32 v11, v12
	v_nop
	s_delay_alu instid0(TRANS32_DEP_1) | instskip(NEXT) | instid1(VALU_DEP_1)
	v_dual_add_nc_u32 v15, -1, v11 :: v_dual_cndmask_b32 v10, v10, v13, s2
	v_dual_add_nc_u32 v13, 1, v11 :: v_dual_fma_f32 v16, -v15, v11, v12
	s_delay_alu instid0(VALU_DEP_2) | instskip(NEXT) | instid1(VALU_DEP_1)
	v_sqrt_f32_e32 v17, v10
	v_fma_f32 v18, -v13, v11, v12
	s_delay_alu instid0(VALU_DEP_2)
	v_cmp_ge_f32_e64 s3, 0, v16
	s_delay_alu instid0(TRANS32_DEP_1) | instid1(VALU_DEP_1)
	v_dual_cndmask_b32 v11, v11, v15, s3 :: v_dual_add_nc_u32 v15, -1, v17
	s_delay_alu instid0(VALU_DEP_3) | instskip(NEXT) | instid1(VALU_DEP_1)
	v_cmp_lt_f32_e64 s3, 0, v18
	v_cndmask_b32_e64 v11, v11, v13, s3
	s_delay_alu instid0(VALU_DEP_3) | instskip(NEXT) | instid1(VALU_DEP_1)
	v_dual_add_nc_u32 v13, 1, v17 :: v_dual_fma_f32 v16, -v15, v17, v10
	v_fma_f32 v19, -v13, v17, v10
	s_delay_alu instid0(VALU_DEP_2) | instskip(NEXT) | instid1(VALU_DEP_1)
	v_cmp_ge_f32_e64 s3, 0, v16
	v_cndmask_b32_e64 v15, v17, v15, s3
	v_mul_f32_e32 v18, 0x37800000, v11
	s_delay_alu instid0(VALU_DEP_4) | instskip(NEXT) | instid1(VALU_DEP_1)
	v_cmp_lt_f32_e64 s3, 0, v19
	v_cndmask_b32_e64 v13, v15, v13, s3
	s_delay_alu instid0(VALU_DEP_3) | instskip(SKIP_1) | instid1(VALU_DEP_2)
	v_cndmask_b32_e32 v11, v11, v18, vcc_lo
	v_cmp_class_f32_e64 vcc_lo, v12, 0x260
	v_cndmask_b32_e32 v11, v11, v12, vcc_lo
	s_delay_alu instid0(VALU_DEP_1) | instskip(SKIP_3) | instid1(VALU_DEP_2)
	v_cmp_nge_f32_e32 vcc_lo, 1.0, v11
	v_cndmask_b32_e32 v8, v14, v8, vcc_lo
	v_mul_f32_e32 v12, 0x37800000, v13
	v_cmp_class_f32_e64 vcc_lo, v10, 0x260
	v_cndmask_b32_e64 v11, v13, v12, s2
	s_delay_alu instid0(VALU_DEP_1) | instskip(NEXT) | instid1(VALU_DEP_1)
	v_dual_add_f32 v12, 1.0, v8 :: v_dual_cndmask_b32 v10, v11, v10, vcc_lo
	v_cmp_nge_f32_e32 vcc_lo, 1.0, v10
	s_delay_alu instid0(VALU_DEP_2)
	v_cndmask_b32_e32 v8, v12, v8, vcc_lo
	s_cbranch_scc1 .LBB27_94
; %bb.95:
	v_add_nc_u32_e32 v9, 0x7f456416, v4
	s_movk_i32 s5, 0x2710
	s_brev_b32 s4, 12
	s_delay_alu instid0(VALU_DEP_1) | instskip(NEXT) | instid1(VALU_DEP_1)
	v_lshrrev_b32_e32 v10, 19, v9
	v_xor3_b32 v9, v9, v10, 0xc761c23c
	s_delay_alu instid0(VALU_DEP_1) | instskip(NEXT) | instid1(VALU_DEP_1)
	v_lshl_add_u32 v9, v9, 5, v9
	v_add_nc_u32_e32 v10, 0xe9f8cc1d, v9
	v_lshl_add_u32 v9, v9, 9, 0xaccf6200
	s_delay_alu instid0(VALU_DEP_1) | instskip(NEXT) | instid1(VALU_DEP_1)
	v_xor_b32_e32 v9, v10, v9
	v_lshlrev_b32_e32 v10, 3, v9
	s_delay_alu instid0(VALU_DEP_1) | instskip(NEXT) | instid1(VALU_DEP_1)
	v_add3_u32 v9, v9, v10, 0xfd7046c5
	v_lshrrev_b32_e32 v10, 16, v9
	s_delay_alu instid0(VALU_DEP_1) | instskip(NEXT) | instid1(VALU_DEP_1)
	v_xor3_b32 v9, v9, v10, 0xb55a4f09
	v_mul_hi_u32 v10, v9, 3
	s_delay_alu instid0(VALU_DEP_1) | instskip(NEXT) | instid1(VALU_DEP_1)
	v_sub_nc_u32_e32 v11, v9, v10
	v_lshrrev_b32_e32 v11, 1, v11
	s_delay_alu instid0(VALU_DEP_1) | instskip(NEXT) | instid1(VALU_DEP_1)
	v_add_nc_u32_e32 v10, v11, v10
	v_lshrrev_b32_e32 v10, 30, v10
	s_delay_alu instid0(VALU_DEP_1) | instskip(NEXT) | instid1(VALU_DEP_1)
	v_mul_lo_u32 v10, 0x7fffffff, v10
	v_sub_nc_u32_e32 v9, v9, v10
	s_delay_alu instid0(VALU_DEP_1)
	v_max_u32_e32 v10, 1, v9
	v_mov_b32_e32 v9, 0
.LBB27_96:                              ; =>This Inner Loop Header: Depth=1
	s_delay_alu instid0(VALU_DEP_2) | instskip(NEXT) | instid1(VALU_DEP_1)
	v_mul_hi_u32 v11, 0xbc8f1391, v10
	v_dual_add_f32 v16, 1.0, v9 :: v_dual_lshrrev_b32 v11, 15, v11
	s_delay_alu instid0(VALU_DEP_1) | instskip(NEXT) | instid1(VALU_DEP_1)
	v_mul_u32_u24_e32 v12, 0xadc8, v11
	v_sub_nc_u32_e32 v10, v10, v12
	v_mul_u32_u24_e32 v11, 0xd47, v11
	s_delay_alu instid0(VALU_DEP_2) | instskip(NEXT) | instid1(VALU_DEP_2)
	v_mul_lo_u32 v10, 0xbc8f, v10
	v_xor_b32_e32 v12, 0x7fffffff, v11
	v_sub_nc_u32_e32 v13, 0, v11
	s_delay_alu instid0(VALU_DEP_3) | instskip(NEXT) | instid1(VALU_DEP_2)
	v_cmp_lt_u32_e32 vcc_lo, v10, v11
	v_cndmask_b32_e32 v11, v13, v12, vcc_lo
	s_delay_alu instid0(VALU_DEP_1) | instskip(NEXT) | instid1(VALU_DEP_1)
	v_add_nc_u32_e32 v10, v11, v10
	v_mul_hi_u32 v11, 0xbc8f1391, v10
	s_delay_alu instid0(VALU_DEP_1) | instskip(NEXT) | instid1(VALU_DEP_1)
	v_lshrrev_b32_e32 v11, 15, v11
	v_mul_u32_u24_e32 v12, 0xadc8, v11
	v_mul_u32_u24_e32 v11, 0xd47, v11
	s_delay_alu instid0(VALU_DEP_2) | instskip(NEXT) | instid1(VALU_DEP_2)
	v_sub_nc_u32_e32 v12, v10, v12
	v_xor_b32_e32 v13, 0x7fffffff, v11
	v_add_nc_u32_e32 v10, -1, v10
	s_delay_alu instid0(VALU_DEP_3) | instskip(SKIP_1) | instid1(VALU_DEP_2)
	v_mul_lo_u32 v12, 0xbc8f, v12
	v_sub_nc_u32_e32 v14, 0, v11
	v_cmp_lt_u32_e32 vcc_lo, v12, v11
	s_delay_alu instid0(VALU_DEP_2) | instskip(NEXT) | instid1(VALU_DEP_1)
	v_cndmask_b32_e32 v11, v14, v13, vcc_lo
	v_add_nc_u32_e32 v11, v11, v12
	s_delay_alu instid0(VALU_DEP_1) | instskip(NEXT) | instid1(VALU_DEP_1)
	v_mul_hi_u32 v12, 0xbc8f1391, v11
	v_lshrrev_b32_e32 v12, 15, v12
	s_delay_alu instid0(VALU_DEP_1) | instskip(SKIP_1) | instid1(VALU_DEP_2)
	v_mul_u32_u24_e32 v13, 0xadc8, v12
	v_mul_u32_u24_e32 v12, 0xd47, v12
	v_sub_nc_u32_e32 v13, v11, v13
	s_delay_alu instid0(VALU_DEP_2) | instskip(SKIP_1) | instid1(VALU_DEP_3)
	v_xor_b32_e32 v14, 0x7fffffff, v12
	v_dual_sub_nc_u32 v15, 0, v12 :: v_dual_add_nc_u32 v11, -1, v11
	v_mul_lo_u32 v13, 0xbc8f, v13
	s_delay_alu instid0(VALU_DEP_1) | instskip(NEXT) | instid1(VALU_DEP_3)
	v_cmp_lt_u32_e32 vcc_lo, v13, v12
	v_cndmask_b32_e32 v12, v15, v14, vcc_lo
	s_delay_alu instid0(VALU_DEP_1) | instskip(NEXT) | instid1(VALU_DEP_1)
	v_add_nc_u32_e32 v14, v12, v13
	v_mul_hi_u32 v12, 0xbc8f1391, v14
	s_delay_alu instid0(VALU_DEP_1) | instskip(NEXT) | instid1(VALU_DEP_1)
	v_lshrrev_b32_e32 v12, 15, v12
	v_mul_u32_u24_e32 v13, 0xadc8, v12
	s_delay_alu instid0(VALU_DEP_1) | instskip(NEXT) | instid1(VALU_DEP_1)
	v_sub_nc_u32_e32 v13, v14, v13
	v_mul_lo_u32 v15, 0xbc8f, v13
	v_mul_u32_u24_e32 v13, 0xd47, v12
	v_cvt_f32_u32_e32 v12, v10
	s_delay_alu instid0(VALU_DEP_2) | instskip(SKIP_4) | instid1(VALU_DEP_2)
	v_xor_b32_e32 v10, 0x7fffffff, v13
	v_sub_nc_u32_e32 v17, 0, v13
	v_cmp_lt_u32_e32 vcc_lo, v15, v13
	v_cvt_f32_u32_e32 v13, v11
	v_add_nc_u32_e32 v11, -1, v14
	v_pk_fma_f32 v[12:13], v[12:13], s[4:5], 0 op_sel_hi:[1,0,0]
	s_delay_alu instid0(VALU_DEP_2) | instskip(NEXT) | instid1(VALU_DEP_2)
	v_cvt_f32_u32_e32 v14, v11
	v_pk_mul_f32 v[12:13], v[12:13], v[12:13]
	s_delay_alu instid0(VALU_DEP_1) | instskip(NEXT) | instid1(VALU_DEP_1)
	v_dual_cndmask_b32 v10, v17, v10 :: v_dual_add_f32 v11, v12, v13
	v_add_nc_u32_e32 v10, v10, v15
	s_delay_alu instid0(VALU_DEP_2) | instskip(NEXT) | instid1(VALU_DEP_2)
	v_cmp_gt_f32_e32 vcc_lo, 0xf800000, v11
	v_add_nc_u32_e32 v15, -1, v10
	s_delay_alu instid0(VALU_DEP_1) | instskip(NEXT) | instid1(VALU_DEP_1)
	v_cvt_f32_u32_e32 v15, v15
	v_pk_fma_f32 v[12:13], v[14:15], s[4:5], 0 op_sel_hi:[1,0,0]
	v_mul_f32_e32 v14, 0x4f800000, v11
	s_add_co_i32 s5, s5, -2
	s_delay_alu instid0(SALU_CYCLE_1) | instskip(NEXT) | instid1(VALU_DEP_2)
	s_cmp_lg_u32 s5, 0
	v_pk_mul_f32 v[12:13], v[12:13], v[12:13]
	s_delay_alu instid0(VALU_DEP_1) | instskip(NEXT) | instid1(VALU_DEP_1)
	v_dual_add_f32 v12, v12, v13 :: v_dual_cndmask_b32 v11, v11, v14
	v_mul_f32_e32 v14, 0x4f800000, v12
	s_delay_alu instid0(VALU_DEP_2)
	v_sqrt_f32_e32 v13, v11
	v_cmp_gt_f32_e64 s2, 0xf800000, v12
	s_delay_alu instid0(TRANS32_DEP_1) | instid1(VALU_DEP_1)
	v_dual_cndmask_b32 v12, v12, v14, s2 :: v_dual_add_nc_u32 v15, -1, v13
	v_add_nc_u32_e32 v14, 1, v13
	s_delay_alu instid0(VALU_DEP_2) | instskip(NEXT) | instid1(VALU_DEP_2)
	v_sqrt_f32_e32 v18, v12
	v_fma_f32 v17, -v15, v13, v11
	s_delay_alu instid0(VALU_DEP_1) | instskip(NEXT) | instid1(VALU_DEP_1)
	v_cmp_ge_f32_e64 s3, 0, v17
	v_dual_fma_f32 v19, -v14, v13, v11 :: v_dual_cndmask_b32 v13, v13, v15, s3
	s_delay_alu instid0(VALU_DEP_1) | instskip(NEXT) | instid1(TRANS32_DEP_1)
	v_cmp_lt_f32_e64 s3, 0, v19
	v_add_nc_u32_e32 v15, -1, v18
	s_delay_alu instid0(VALU_DEP_2) | instskip(NEXT) | instid1(VALU_DEP_2)
	v_cndmask_b32_e64 v13, v13, v14, s3
	v_dual_add_nc_u32 v14, 1, v18 :: v_dual_fma_f32 v17, -v15, v18, v12
	s_delay_alu instid0(VALU_DEP_1) | instskip(NEXT) | instid1(VALU_DEP_2)
	v_fma_f32 v20, -v14, v18, v12
	v_cmp_ge_f32_e64 s3, 0, v17
	s_delay_alu instid0(VALU_DEP_1) | instskip(SKIP_1) | instid1(VALU_DEP_4)
	v_cndmask_b32_e64 v15, v18, v15, s3
	v_mul_f32_e32 v19, 0x37800000, v13
	v_cmp_lt_f32_e64 s3, 0, v20
	s_delay_alu instid0(VALU_DEP_1) | instskip(SKIP_1) | instid1(VALU_DEP_2)
	v_dual_cndmask_b32 v13, v13, v19, vcc_lo :: v_dual_cndmask_b32 v14, v15, v14, s3
	v_cmp_class_f32_e64 vcc_lo, v11, 0x260
	v_cndmask_b32_e32 v11, v13, v11, vcc_lo
	s_delay_alu instid0(VALU_DEP_3) | instskip(NEXT) | instid1(VALU_DEP_2)
	v_mul_f32_e32 v13, 0x37800000, v14
	v_cmp_nge_f32_e32 vcc_lo, 1.0, v11
	s_delay_alu instid0(VALU_DEP_2) | instskip(SKIP_2) | instid1(VALU_DEP_1)
	v_cndmask_b32_e64 v11, v14, v13, s2
	v_cndmask_b32_e32 v9, v16, v9, vcc_lo
	v_cmp_class_f32_e64 vcc_lo, v12, 0x260
	v_dual_add_f32 v13, 1.0, v9 :: v_dual_cndmask_b32 v11, v11, v12, vcc_lo
	s_delay_alu instid0(VALU_DEP_1) | instskip(NEXT) | instid1(VALU_DEP_2)
	v_cmp_nge_f32_e32 vcc_lo, 1.0, v11
	v_cndmask_b32_e32 v9, v13, v9, vcc_lo
	s_cbranch_scc1 .LBB27_96
; %bb.97:
	v_add_nc_u32_e32 v10, 0x7f556516, v4
	s_movk_i32 s5, 0x2710
	s_brev_b32 s4, 12
	s_delay_alu instid0(VALU_DEP_1) | instskip(NEXT) | instid1(VALU_DEP_1)
	v_lshrrev_b32_e32 v11, 19, v10
	v_xor3_b32 v10, v10, v11, 0xc761c23c
	s_delay_alu instid0(VALU_DEP_1) | instskip(NEXT) | instid1(VALU_DEP_1)
	v_lshl_add_u32 v10, v10, 5, v10
	v_add_nc_u32_e32 v11, 0xe9f8cc1d, v10
	v_lshl_add_u32 v10, v10, 9, 0xaccf6200
	s_delay_alu instid0(VALU_DEP_1) | instskip(NEXT) | instid1(VALU_DEP_1)
	v_xor_b32_e32 v10, v11, v10
	v_lshlrev_b32_e32 v11, 3, v10
	s_delay_alu instid0(VALU_DEP_1) | instskip(NEXT) | instid1(VALU_DEP_1)
	v_add3_u32 v10, v10, v11, 0xfd7046c5
	v_lshrrev_b32_e32 v11, 16, v10
	s_delay_alu instid0(VALU_DEP_1) | instskip(NEXT) | instid1(VALU_DEP_1)
	v_xor3_b32 v10, v10, v11, 0xb55a4f09
	v_mul_hi_u32 v11, v10, 3
	s_delay_alu instid0(VALU_DEP_1) | instskip(NEXT) | instid1(VALU_DEP_1)
	v_sub_nc_u32_e32 v12, v10, v11
	v_lshrrev_b32_e32 v12, 1, v12
	s_delay_alu instid0(VALU_DEP_1) | instskip(NEXT) | instid1(VALU_DEP_1)
	v_add_nc_u32_e32 v11, v12, v11
	v_lshrrev_b32_e32 v11, 30, v11
	s_delay_alu instid0(VALU_DEP_1) | instskip(NEXT) | instid1(VALU_DEP_1)
	v_mul_lo_u32 v11, 0x7fffffff, v11
	v_dual_mov_b32 v11, 0 :: v_dual_sub_nc_u32 v10, v10, v11
	s_delay_alu instid0(VALU_DEP_1)
	v_max_u32_e32 v10, 1, v10
.LBB27_98:                              ; =>This Inner Loop Header: Depth=1
	s_delay_alu instid0(VALU_DEP_1) | instskip(NEXT) | instid1(VALU_DEP_1)
	v_mul_hi_u32 v12, 0xbc8f1391, v10
	v_lshrrev_b32_e32 v12, 15, v12
	s_delay_alu instid0(VALU_DEP_1) | instskip(NEXT) | instid1(VALU_DEP_1)
	v_mul_u32_u24_e32 v13, 0xadc8, v12
	v_sub_nc_u32_e32 v10, v10, v13
	v_mul_u32_u24_e32 v12, 0xd47, v12
	s_delay_alu instid0(VALU_DEP_2) | instskip(NEXT) | instid1(VALU_DEP_2)
	v_mul_lo_u32 v10, 0xbc8f, v10
	v_xor_b32_e32 v13, 0x7fffffff, v12
	v_sub_nc_u32_e32 v14, 0, v12
	s_delay_alu instid0(VALU_DEP_3) | instskip(NEXT) | instid1(VALU_DEP_2)
	v_cmp_lt_u32_e32 vcc_lo, v10, v12
	v_cndmask_b32_e32 v12, v14, v13, vcc_lo
	s_delay_alu instid0(VALU_DEP_1) | instskip(NEXT) | instid1(VALU_DEP_1)
	v_add_nc_u32_e32 v10, v12, v10
	v_mul_hi_u32 v12, 0xbc8f1391, v10
	s_delay_alu instid0(VALU_DEP_1) | instskip(NEXT) | instid1(VALU_DEP_1)
	v_lshrrev_b32_e32 v12, 15, v12
	v_mul_u32_u24_e32 v13, 0xadc8, v12
	s_delay_alu instid0(VALU_DEP_1) | instskip(SKIP_2) | instid1(VALU_DEP_3)
	v_sub_nc_u32_e32 v13, v10, v13
	v_mul_u32_u24_e32 v12, 0xd47, v12
	v_add_nc_u32_e32 v10, -1, v10
	v_mul_lo_u32 v13, 0xbc8f, v13
	s_delay_alu instid0(VALU_DEP_3) | instskip(SKIP_1) | instid1(VALU_DEP_3)
	v_xor_b32_e32 v14, 0x7fffffff, v12
	v_sub_nc_u32_e32 v15, 0, v12
	v_cmp_lt_u32_e32 vcc_lo, v13, v12
	s_delay_alu instid0(VALU_DEP_2) | instskip(NEXT) | instid1(VALU_DEP_1)
	v_cndmask_b32_e32 v12, v15, v14, vcc_lo
	v_add_nc_u32_e32 v13, v12, v13
	s_delay_alu instid0(VALU_DEP_1) | instskip(NEXT) | instid1(VALU_DEP_1)
	v_mul_hi_u32 v12, 0xbc8f1391, v13
	v_lshrrev_b32_e32 v12, 15, v12
	s_delay_alu instid0(VALU_DEP_1) | instskip(SKIP_1) | instid1(VALU_DEP_2)
	v_mul_u32_u24_e32 v14, 0xadc8, v12
	v_mul_u32_u24_e32 v12, 0xd47, v12
	v_sub_nc_u32_e32 v14, v13, v14
	s_delay_alu instid0(VALU_DEP_2) | instskip(NEXT) | instid1(VALU_DEP_2)
	v_xor_b32_e32 v15, 0x7fffffff, v12
	v_mul_lo_u32 v14, 0xbc8f, v14
	v_sub_nc_u32_e32 v16, 0, v12
	s_delay_alu instid0(VALU_DEP_2) | instskip(NEXT) | instid1(VALU_DEP_2)
	v_cmp_lt_u32_e32 vcc_lo, v14, v12
	v_cndmask_b32_e32 v12, v16, v15, vcc_lo
	s_delay_alu instid0(VALU_DEP_1) | instskip(NEXT) | instid1(VALU_DEP_1)
	v_dual_add_f32 v16, 1.0, v11 :: v_dual_add_nc_u32 v14, v12, v14
	v_mul_hi_u32 v12, 0xbc8f1391, v14
	s_delay_alu instid0(VALU_DEP_1) | instskip(NEXT) | instid1(VALU_DEP_1)
	v_lshrrev_b32_e32 v12, 15, v12
	v_mul_u32_u24_e32 v17, 0xd47, v12
	s_delay_alu instid0(VALU_DEP_1) | instskip(SKIP_3) | instid1(VALU_DEP_3)
	v_sub_nc_u32_e32 v18, 0, v17
	v_mul_u32_u24_e32 v15, 0xadc8, v12
	v_cvt_f32_u32_e32 v12, v10
	v_xor_b32_e32 v10, 0x7fffffff, v17
	v_dual_sub_nc_u32 v15, v14, v15 :: v_dual_add_nc_u32 v14, -1, v14
	s_delay_alu instid0(VALU_DEP_1) | instskip(NEXT) | instid1(VALU_DEP_2)
	v_mul_lo_u32 v15, 0xbc8f, v15
	v_cvt_f32_u32_e32 v14, v14
	s_delay_alu instid0(VALU_DEP_2) | instskip(SKIP_1) | instid1(VALU_DEP_1)
	v_cmp_lt_u32_e32 vcc_lo, v15, v17
	v_dual_cndmask_b32 v10, v18, v10 :: v_dual_add_nc_u32 v13, -1, v13
	v_cvt_f32_u32_e32 v13, v13
	s_delay_alu instid0(VALU_DEP_2) | instskip(NEXT) | instid1(VALU_DEP_2)
	v_add_nc_u32_e32 v10, v10, v15
	v_pk_fma_f32 v[12:13], v[12:13], s[4:5], 0 op_sel_hi:[1,0,0]
	s_delay_alu instid0(VALU_DEP_1) | instskip(NEXT) | instid1(VALU_DEP_1)
	v_pk_mul_f32 v[12:13], v[12:13], v[12:13]
	v_dual_add_nc_u32 v15, -1, v10 :: v_dual_add_f32 v17, v12, v13
	s_delay_alu instid0(VALU_DEP_1) | instskip(NEXT) | instid1(VALU_DEP_2)
	v_cvt_f32_u32_e32 v15, v15
	v_cmp_gt_f32_e32 vcc_lo, 0xf800000, v17
	s_delay_alu instid0(VALU_DEP_2) | instskip(SKIP_1) | instid1(SALU_CYCLE_1)
	v_pk_fma_f32 v[12:13], v[14:15], s[4:5], 0 op_sel_hi:[1,0,0]
	s_add_co_i32 s5, s5, -2
	s_cmp_lg_u32 s5, 0
	s_delay_alu instid0(VALU_DEP_1) | instskip(NEXT) | instid1(VALU_DEP_1)
	v_pk_mul_f32 v[12:13], v[12:13], v[12:13]
	v_add_f32_e32 v12, v12, v13
	s_delay_alu instid0(VALU_DEP_1) | instskip(NEXT) | instid1(VALU_DEP_1)
	v_dual_mul_f32 v14, 0x4f800000, v17 :: v_dual_mul_f32 v15, 0x4f800000, v12
	v_cndmask_b32_e32 v14, v17, v14, vcc_lo
	v_cmp_gt_f32_e64 s2, 0xf800000, v12
	s_delay_alu instid0(VALU_DEP_2) | instskip(SKIP_1) | instid1(TRANS32_DEP_1)
	v_sqrt_f32_e32 v13, v14
	v_nop
	v_dual_add_nc_u32 v17, -1, v13 :: v_dual_cndmask_b32 v12, v12, v15, s2
	s_delay_alu instid0(VALU_DEP_1) | instskip(NEXT) | instid1(VALU_DEP_2)
	v_dual_add_nc_u32 v15, 1, v13 :: v_dual_fma_f32 v18, -v17, v13, v14
	v_sqrt_f32_e32 v19, v12
	s_delay_alu instid0(VALU_DEP_1) | instskip(NEXT) | instid1(VALU_DEP_2)
	v_fma_f32 v20, -v15, v13, v14
	v_cmp_ge_f32_e64 s3, 0, v18
	s_delay_alu instid0(TRANS32_DEP_1) | instid1(VALU_DEP_1)
	v_dual_cndmask_b32 v13, v13, v17, s3 :: v_dual_add_nc_u32 v17, -1, v19
	s_delay_alu instid0(VALU_DEP_3) | instskip(NEXT) | instid1(VALU_DEP_1)
	v_cmp_lt_f32_e64 s3, 0, v20
	v_cndmask_b32_e64 v13, v13, v15, s3
	s_delay_alu instid0(VALU_DEP_3) | instskip(NEXT) | instid1(VALU_DEP_1)
	v_dual_add_nc_u32 v15, 1, v19 :: v_dual_fma_f32 v18, -v17, v19, v12
	v_fma_f32 v21, -v15, v19, v12
	s_delay_alu instid0(VALU_DEP_2) | instskip(NEXT) | instid1(VALU_DEP_1)
	v_cmp_ge_f32_e64 s3, 0, v18
	v_cndmask_b32_e64 v17, v19, v17, s3
	v_mul_f32_e32 v20, 0x37800000, v13
	s_delay_alu instid0(VALU_DEP_4) | instskip(NEXT) | instid1(VALU_DEP_1)
	v_cmp_lt_f32_e64 s3, 0, v21
	v_cndmask_b32_e64 v15, v17, v15, s3
	s_delay_alu instid0(VALU_DEP_3) | instskip(SKIP_1) | instid1(VALU_DEP_2)
	v_cndmask_b32_e32 v13, v13, v20, vcc_lo
	v_cmp_class_f32_e64 vcc_lo, v14, 0x260
	v_dual_cndmask_b32 v13, v13, v14 :: v_dual_mul_f32 v14, 0x37800000, v15
	s_delay_alu instid0(VALU_DEP_1) | instskip(NEXT) | instid1(VALU_DEP_2)
	v_cmp_nge_f32_e32 vcc_lo, 1.0, v13
	v_dual_cndmask_b32 v13, v15, v14, s2 :: v_dual_cndmask_b32 v11, v16, v11, vcc_lo
	v_cmp_class_f32_e64 vcc_lo, v12, 0x260
	s_delay_alu instid0(VALU_DEP_1) | instskip(NEXT) | instid1(VALU_DEP_1)
	v_dual_add_f32 v14, 1.0, v11 :: v_dual_cndmask_b32 v12, v13, v12, vcc_lo
	v_cmp_nge_f32_e32 vcc_lo, 1.0, v12
	s_delay_alu instid0(VALU_DEP_2)
	v_cndmask_b32_e32 v11, v14, v11, vcc_lo
	s_cbranch_scc1 .LBB27_98
; %bb.99:
	v_add_nc_u32_e32 v10, 0x7f656616, v4
	s_movk_i32 s5, 0x2710
	s_brev_b32 s4, 12
	s_delay_alu instid0(VALU_DEP_1) | instskip(NEXT) | instid1(VALU_DEP_1)
	v_lshrrev_b32_e32 v12, 19, v10
	v_xor3_b32 v10, v10, v12, 0xc761c23c
	s_delay_alu instid0(VALU_DEP_1) | instskip(NEXT) | instid1(VALU_DEP_1)
	v_lshl_add_u32 v10, v10, 5, v10
	v_add_nc_u32_e32 v12, 0xe9f8cc1d, v10
	v_lshl_add_u32 v10, v10, 9, 0xaccf6200
	s_delay_alu instid0(VALU_DEP_1) | instskip(NEXT) | instid1(VALU_DEP_1)
	v_xor_b32_e32 v10, v12, v10
	v_lshlrev_b32_e32 v12, 3, v10
	s_delay_alu instid0(VALU_DEP_1) | instskip(NEXT) | instid1(VALU_DEP_1)
	v_add3_u32 v10, v10, v12, 0xfd7046c5
	v_lshrrev_b32_e32 v12, 16, v10
	s_delay_alu instid0(VALU_DEP_1) | instskip(NEXT) | instid1(VALU_DEP_1)
	v_xor3_b32 v10, v10, v12, 0xb55a4f09
	v_mul_hi_u32 v12, v10, 3
	s_delay_alu instid0(VALU_DEP_1) | instskip(NEXT) | instid1(VALU_DEP_1)
	v_sub_nc_u32_e32 v13, v10, v12
	v_lshrrev_b32_e32 v13, 1, v13
	s_delay_alu instid0(VALU_DEP_1) | instskip(NEXT) | instid1(VALU_DEP_1)
	v_add_nc_u32_e32 v12, v13, v12
	v_lshrrev_b32_e32 v12, 30, v12
	s_delay_alu instid0(VALU_DEP_1) | instskip(NEXT) | instid1(VALU_DEP_1)
	v_mul_lo_u32 v12, 0x7fffffff, v12
	v_sub_nc_u32_e32 v10, v10, v12
	s_delay_alu instid0(VALU_DEP_1)
	v_max_u32_e32 v12, 1, v10
	v_mov_b32_e32 v10, 0
.LBB27_100:                             ; =>This Inner Loop Header: Depth=1
	s_delay_alu instid0(VALU_DEP_2) | instskip(NEXT) | instid1(VALU_DEP_1)
	v_mul_hi_u32 v13, 0xbc8f1391, v12
	v_dual_add_f32 v18, 1.0, v10 :: v_dual_lshrrev_b32 v13, 15, v13
	s_delay_alu instid0(VALU_DEP_1) | instskip(NEXT) | instid1(VALU_DEP_1)
	v_mul_u32_u24_e32 v14, 0xadc8, v13
	v_sub_nc_u32_e32 v12, v12, v14
	v_mul_u32_u24_e32 v13, 0xd47, v13
	s_delay_alu instid0(VALU_DEP_2) | instskip(NEXT) | instid1(VALU_DEP_2)
	v_mul_lo_u32 v12, 0xbc8f, v12
	v_xor_b32_e32 v14, 0x7fffffff, v13
	v_sub_nc_u32_e32 v15, 0, v13
	s_delay_alu instid0(VALU_DEP_3) | instskip(NEXT) | instid1(VALU_DEP_2)
	v_cmp_lt_u32_e32 vcc_lo, v12, v13
	v_cndmask_b32_e32 v13, v15, v14, vcc_lo
	s_delay_alu instid0(VALU_DEP_1) | instskip(NEXT) | instid1(VALU_DEP_1)
	v_add_nc_u32_e32 v12, v13, v12
	v_mul_hi_u32 v13, 0xbc8f1391, v12
	s_delay_alu instid0(VALU_DEP_1) | instskip(NEXT) | instid1(VALU_DEP_1)
	v_lshrrev_b32_e32 v13, 15, v13
	v_mul_u32_u24_e32 v14, 0xadc8, v13
	v_mul_u32_u24_e32 v13, 0xd47, v13
	s_delay_alu instid0(VALU_DEP_2) | instskip(NEXT) | instid1(VALU_DEP_2)
	v_sub_nc_u32_e32 v14, v12, v14
	v_xor_b32_e32 v15, 0x7fffffff, v13
	v_add_nc_u32_e32 v12, -1, v12
	s_delay_alu instid0(VALU_DEP_3) | instskip(SKIP_1) | instid1(VALU_DEP_2)
	v_mul_lo_u32 v14, 0xbc8f, v14
	v_sub_nc_u32_e32 v16, 0, v13
	v_cmp_lt_u32_e32 vcc_lo, v14, v13
	s_delay_alu instid0(VALU_DEP_2) | instskip(NEXT) | instid1(VALU_DEP_1)
	v_cndmask_b32_e32 v13, v16, v15, vcc_lo
	v_add_nc_u32_e32 v13, v13, v14
	s_delay_alu instid0(VALU_DEP_1) | instskip(NEXT) | instid1(VALU_DEP_1)
	v_mul_hi_u32 v14, 0xbc8f1391, v13
	v_lshrrev_b32_e32 v14, 15, v14
	s_delay_alu instid0(VALU_DEP_1) | instskip(SKIP_1) | instid1(VALU_DEP_2)
	v_mul_u32_u24_e32 v15, 0xadc8, v14
	v_mul_u32_u24_e32 v14, 0xd47, v14
	v_sub_nc_u32_e32 v15, v13, v15
	s_delay_alu instid0(VALU_DEP_2) | instskip(SKIP_1) | instid1(VALU_DEP_3)
	v_xor_b32_e32 v16, 0x7fffffff, v14
	v_dual_sub_nc_u32 v17, 0, v14 :: v_dual_add_nc_u32 v13, -1, v13
	v_mul_lo_u32 v15, 0xbc8f, v15
	s_delay_alu instid0(VALU_DEP_1) | instskip(NEXT) | instid1(VALU_DEP_3)
	v_cmp_lt_u32_e32 vcc_lo, v15, v14
	v_cndmask_b32_e32 v14, v17, v16, vcc_lo
	s_delay_alu instid0(VALU_DEP_1) | instskip(NEXT) | instid1(VALU_DEP_1)
	v_add_nc_u32_e32 v16, v14, v15
	v_mul_hi_u32 v14, 0xbc8f1391, v16
	s_delay_alu instid0(VALU_DEP_1) | instskip(NEXT) | instid1(VALU_DEP_1)
	v_lshrrev_b32_e32 v14, 15, v14
	v_mul_u32_u24_e32 v15, 0xadc8, v14
	s_delay_alu instid0(VALU_DEP_1) | instskip(NEXT) | instid1(VALU_DEP_1)
	v_sub_nc_u32_e32 v15, v16, v15
	v_mul_lo_u32 v17, 0xbc8f, v15
	v_mul_u32_u24_e32 v15, 0xd47, v14
	v_cvt_f32_u32_e32 v14, v12
	s_delay_alu instid0(VALU_DEP_2) | instskip(SKIP_4) | instid1(VALU_DEP_2)
	v_xor_b32_e32 v12, 0x7fffffff, v15
	v_sub_nc_u32_e32 v19, 0, v15
	v_cmp_lt_u32_e32 vcc_lo, v17, v15
	v_cvt_f32_u32_e32 v15, v13
	v_add_nc_u32_e32 v13, -1, v16
	v_pk_fma_f32 v[14:15], v[14:15], s[4:5], 0 op_sel_hi:[1,0,0]
	s_delay_alu instid0(VALU_DEP_2) | instskip(NEXT) | instid1(VALU_DEP_2)
	v_cvt_f32_u32_e32 v16, v13
	v_pk_mul_f32 v[14:15], v[14:15], v[14:15]
	s_delay_alu instid0(VALU_DEP_1) | instskip(NEXT) | instid1(VALU_DEP_1)
	v_dual_cndmask_b32 v12, v19, v12 :: v_dual_add_f32 v13, v14, v15
	v_add_nc_u32_e32 v12, v12, v17
	s_delay_alu instid0(VALU_DEP_2) | instskip(NEXT) | instid1(VALU_DEP_2)
	v_cmp_gt_f32_e32 vcc_lo, 0xf800000, v13
	v_add_nc_u32_e32 v17, -1, v12
	s_delay_alu instid0(VALU_DEP_1) | instskip(NEXT) | instid1(VALU_DEP_1)
	v_cvt_f32_u32_e32 v17, v17
	v_pk_fma_f32 v[14:15], v[16:17], s[4:5], 0 op_sel_hi:[1,0,0]
	v_mul_f32_e32 v16, 0x4f800000, v13
	s_add_co_i32 s5, s5, -2
	s_delay_alu instid0(SALU_CYCLE_1) | instskip(NEXT) | instid1(VALU_DEP_2)
	s_cmp_lg_u32 s5, 0
	v_pk_mul_f32 v[14:15], v[14:15], v[14:15]
	s_delay_alu instid0(VALU_DEP_1) | instskip(NEXT) | instid1(VALU_DEP_1)
	v_dual_add_f32 v14, v14, v15 :: v_dual_cndmask_b32 v13, v13, v16
	v_mul_f32_e32 v16, 0x4f800000, v14
	s_delay_alu instid0(VALU_DEP_2)
	v_sqrt_f32_e32 v15, v13
	v_cmp_gt_f32_e64 s2, 0xf800000, v14
	s_delay_alu instid0(TRANS32_DEP_1) | instid1(VALU_DEP_1)
	v_dual_cndmask_b32 v14, v14, v16, s2 :: v_dual_add_nc_u32 v17, -1, v15
	v_add_nc_u32_e32 v16, 1, v15
	s_delay_alu instid0(VALU_DEP_2) | instskip(NEXT) | instid1(VALU_DEP_2)
	v_sqrt_f32_e32 v20, v14
	v_fma_f32 v19, -v17, v15, v13
	s_delay_alu instid0(VALU_DEP_1) | instskip(NEXT) | instid1(VALU_DEP_1)
	v_cmp_ge_f32_e64 s3, 0, v19
	v_dual_fma_f32 v21, -v16, v15, v13 :: v_dual_cndmask_b32 v15, v15, v17, s3
	s_delay_alu instid0(VALU_DEP_1) | instskip(NEXT) | instid1(TRANS32_DEP_1)
	v_cmp_lt_f32_e64 s3, 0, v21
	v_add_nc_u32_e32 v17, -1, v20
	s_delay_alu instid0(VALU_DEP_2) | instskip(NEXT) | instid1(VALU_DEP_2)
	v_cndmask_b32_e64 v15, v15, v16, s3
	v_dual_add_nc_u32 v16, 1, v20 :: v_dual_fma_f32 v19, -v17, v20, v14
	s_delay_alu instid0(VALU_DEP_1) | instskip(NEXT) | instid1(VALU_DEP_2)
	v_fma_f32 v22, -v16, v20, v14
	v_cmp_ge_f32_e64 s3, 0, v19
	s_delay_alu instid0(VALU_DEP_1) | instskip(SKIP_1) | instid1(VALU_DEP_4)
	v_cndmask_b32_e64 v17, v20, v17, s3
	v_mul_f32_e32 v21, 0x37800000, v15
	v_cmp_lt_f32_e64 s3, 0, v22
	s_delay_alu instid0(VALU_DEP_1) | instskip(SKIP_1) | instid1(VALU_DEP_2)
	v_dual_cndmask_b32 v15, v15, v21, vcc_lo :: v_dual_cndmask_b32 v16, v17, v16, s3
	v_cmp_class_f32_e64 vcc_lo, v13, 0x260
	v_cndmask_b32_e32 v13, v15, v13, vcc_lo
	s_delay_alu instid0(VALU_DEP_3) | instskip(NEXT) | instid1(VALU_DEP_2)
	v_mul_f32_e32 v15, 0x37800000, v16
	v_cmp_nge_f32_e32 vcc_lo, 1.0, v13
	s_delay_alu instid0(VALU_DEP_2) | instskip(SKIP_1) | instid1(VALU_DEP_2)
	v_dual_cndmask_b32 v10, v18, v10, vcc_lo :: v_dual_cndmask_b32 v13, v16, v15, s2
	v_cmp_class_f32_e64 vcc_lo, v14, 0x260
	v_add_f32_e32 v15, 1.0, v10
	s_delay_alu instid0(VALU_DEP_3) | instskip(NEXT) | instid1(VALU_DEP_1)
	v_cndmask_b32_e32 v13, v13, v14, vcc_lo
	v_cmp_nge_f32_e32 vcc_lo, 1.0, v13
	s_delay_alu instid0(VALU_DEP_3)
	v_cndmask_b32_e32 v10, v15, v10, vcc_lo
	s_cbranch_scc1 .LBB27_100
; %bb.101:
	v_add_nc_u32_e32 v12, 0x7f756716, v4
	s_movk_i32 s5, 0x2710
	s_brev_b32 s4, 12
	s_delay_alu instid0(VALU_DEP_1) | instskip(NEXT) | instid1(VALU_DEP_1)
	v_lshrrev_b32_e32 v13, 19, v12
	v_xor3_b32 v12, v12, v13, 0xc761c23c
	s_delay_alu instid0(VALU_DEP_1) | instskip(NEXT) | instid1(VALU_DEP_1)
	v_lshl_add_u32 v12, v12, 5, v12
	v_add_nc_u32_e32 v13, 0xe9f8cc1d, v12
	v_lshl_add_u32 v12, v12, 9, 0xaccf6200
	s_delay_alu instid0(VALU_DEP_1) | instskip(NEXT) | instid1(VALU_DEP_1)
	v_xor_b32_e32 v12, v13, v12
	v_lshlrev_b32_e32 v13, 3, v12
	s_delay_alu instid0(VALU_DEP_1) | instskip(NEXT) | instid1(VALU_DEP_1)
	v_add3_u32 v12, v12, v13, 0xfd7046c5
	v_lshrrev_b32_e32 v13, 16, v12
	s_delay_alu instid0(VALU_DEP_1) | instskip(NEXT) | instid1(VALU_DEP_1)
	v_xor3_b32 v12, v12, v13, 0xb55a4f09
	v_mul_hi_u32 v13, v12, 3
	s_delay_alu instid0(VALU_DEP_1) | instskip(NEXT) | instid1(VALU_DEP_1)
	v_sub_nc_u32_e32 v14, v12, v13
	v_lshrrev_b32_e32 v14, 1, v14
	s_delay_alu instid0(VALU_DEP_1) | instskip(NEXT) | instid1(VALU_DEP_1)
	v_add_nc_u32_e32 v13, v14, v13
	v_lshrrev_b32_e32 v13, 30, v13
	s_delay_alu instid0(VALU_DEP_1) | instskip(NEXT) | instid1(VALU_DEP_1)
	v_mul_lo_u32 v13, 0x7fffffff, v13
	v_sub_nc_u32_e32 v12, v12, v13
	s_delay_alu instid0(VALU_DEP_1)
	v_max_u32_e32 v13, 1, v12
	v_mov_b32_e32 v12, 0
.LBB27_102:                             ; =>This Inner Loop Header: Depth=1
	s_delay_alu instid0(VALU_DEP_2) | instskip(NEXT) | instid1(VALU_DEP_1)
	v_mul_hi_u32 v14, 0xbc8f1391, v13
	v_lshrrev_b32_e32 v14, 15, v14
	s_delay_alu instid0(VALU_DEP_1) | instskip(NEXT) | instid1(VALU_DEP_1)
	v_mul_u32_u24_e32 v15, 0xadc8, v14
	v_sub_nc_u32_e32 v13, v13, v15
	v_mul_u32_u24_e32 v14, 0xd47, v14
	s_delay_alu instid0(VALU_DEP_2) | instskip(NEXT) | instid1(VALU_DEP_2)
	v_mul_lo_u32 v13, 0xbc8f, v13
	v_xor_b32_e32 v15, 0x7fffffff, v14
	v_sub_nc_u32_e32 v16, 0, v14
	s_delay_alu instid0(VALU_DEP_3) | instskip(NEXT) | instid1(VALU_DEP_2)
	v_cmp_lt_u32_e32 vcc_lo, v13, v14
	v_cndmask_b32_e32 v14, v16, v15, vcc_lo
	s_delay_alu instid0(VALU_DEP_1) | instskip(NEXT) | instid1(VALU_DEP_1)
	v_add_nc_u32_e32 v13, v14, v13
	v_mul_hi_u32 v14, 0xbc8f1391, v13
	s_delay_alu instid0(VALU_DEP_1) | instskip(NEXT) | instid1(VALU_DEP_1)
	v_lshrrev_b32_e32 v14, 15, v14
	v_mul_u32_u24_e32 v15, 0xadc8, v14
	v_mul_u32_u24_e32 v14, 0xd47, v14
	s_delay_alu instid0(VALU_DEP_2) | instskip(NEXT) | instid1(VALU_DEP_2)
	v_sub_nc_u32_e32 v15, v13, v15
	v_xor_b32_e32 v16, 0x7fffffff, v14
	v_add_nc_u32_e32 v13, -1, v13
	s_delay_alu instid0(VALU_DEP_3) | instskip(SKIP_1) | instid1(VALU_DEP_2)
	v_mul_lo_u32 v15, 0xbc8f, v15
	v_sub_nc_u32_e32 v17, 0, v14
	v_cmp_lt_u32_e32 vcc_lo, v15, v14
	s_delay_alu instid0(VALU_DEP_2) | instskip(NEXT) | instid1(VALU_DEP_1)
	v_cndmask_b32_e32 v14, v17, v16, vcc_lo
	v_add_nc_u32_e32 v15, v14, v15
	s_delay_alu instid0(VALU_DEP_1) | instskip(NEXT) | instid1(VALU_DEP_1)
	v_mul_hi_u32 v14, 0xbc8f1391, v15
	v_lshrrev_b32_e32 v14, 15, v14
	s_delay_alu instid0(VALU_DEP_1) | instskip(SKIP_1) | instid1(VALU_DEP_2)
	v_mul_u32_u24_e32 v16, 0xadc8, v14
	v_mul_u32_u24_e32 v14, 0xd47, v14
	v_sub_nc_u32_e32 v16, v15, v16
	s_delay_alu instid0(VALU_DEP_2) | instskip(NEXT) | instid1(VALU_DEP_2)
	v_xor_b32_e32 v17, 0x7fffffff, v14
	v_mul_lo_u32 v16, 0xbc8f, v16
	v_sub_nc_u32_e32 v18, 0, v14
	s_delay_alu instid0(VALU_DEP_2) | instskip(NEXT) | instid1(VALU_DEP_2)
	v_cmp_lt_u32_e32 vcc_lo, v16, v14
	v_dual_cndmask_b32 v14, v18, v17, vcc_lo :: v_dual_add_f32 v18, 1.0, v12
	s_delay_alu instid0(VALU_DEP_1) | instskip(NEXT) | instid1(VALU_DEP_1)
	v_add_nc_u32_e32 v16, v14, v16
	v_mul_hi_u32 v14, 0xbc8f1391, v16
	s_delay_alu instid0(VALU_DEP_1) | instskip(NEXT) | instid1(VALU_DEP_1)
	v_lshrrev_b32_e32 v14, 15, v14
	v_mul_u32_u24_e32 v17, 0xadc8, v14
	v_mul_u32_u24_e32 v19, 0xd47, v14
	v_cvt_f32_u32_e32 v14, v13
	s_delay_alu instid0(VALU_DEP_3) | instskip(NEXT) | instid1(VALU_DEP_3)
	v_sub_nc_u32_e32 v17, v16, v17
	v_xor_b32_e32 v13, 0x7fffffff, v19
	v_dual_sub_nc_u32 v20, 0, v19 :: v_dual_add_nc_u32 v16, -1, v16
	s_delay_alu instid0(VALU_DEP_3) | instskip(NEXT) | instid1(VALU_DEP_2)
	v_mul_lo_u32 v17, 0xbc8f, v17
	v_cvt_f32_u32_e32 v16, v16
	s_delay_alu instid0(VALU_DEP_2) | instskip(NEXT) | instid1(VALU_DEP_4)
	v_cmp_lt_u32_e32 vcc_lo, v17, v19
	v_dual_add_nc_u32 v15, -1, v15 :: v_dual_cndmask_b32 v13, v20, v13, vcc_lo
	s_delay_alu instid0(VALU_DEP_1) | instskip(NEXT) | instid1(VALU_DEP_2)
	v_cvt_f32_u32_e32 v15, v15
	v_add_nc_u32_e32 v13, v13, v17
	s_delay_alu instid0(VALU_DEP_2) | instskip(NEXT) | instid1(VALU_DEP_1)
	v_pk_fma_f32 v[14:15], v[14:15], s[4:5], 0 op_sel_hi:[1,0,0]
	v_pk_mul_f32 v[14:15], v[14:15], v[14:15]
	s_delay_alu instid0(VALU_DEP_1) | instskip(NEXT) | instid1(VALU_DEP_1)
	v_dual_add_nc_u32 v17, -1, v13 :: v_dual_add_f32 v19, v14, v15
	v_cvt_f32_u32_e32 v17, v17
	s_delay_alu instid0(VALU_DEP_2) | instskip(NEXT) | instid1(VALU_DEP_2)
	v_cmp_gt_f32_e32 vcc_lo, 0xf800000, v19
	v_pk_fma_f32 v[14:15], v[16:17], s[4:5], 0 op_sel_hi:[1,0,0]
	s_add_co_i32 s5, s5, -2
	s_delay_alu instid0(SALU_CYCLE_1) | instskip(NEXT) | instid1(VALU_DEP_1)
	s_cmp_lg_u32 s5, 0
	v_pk_mul_f32 v[14:15], v[14:15], v[14:15]
	s_delay_alu instid0(VALU_DEP_1) | instskip(NEXT) | instid1(VALU_DEP_1)
	v_add_f32_e32 v14, v14, v15
	v_dual_mul_f32 v16, 0x4f800000, v19 :: v_dual_mul_f32 v17, 0x4f800000, v14
	s_delay_alu instid0(VALU_DEP_1) | instskip(SKIP_1) | instid1(VALU_DEP_2)
	v_cndmask_b32_e32 v16, v19, v16, vcc_lo
	v_cmp_gt_f32_e64 s2, 0xf800000, v14
	v_sqrt_f32_e32 v15, v16
	v_nop
	s_delay_alu instid0(TRANS32_DEP_1) | instskip(NEXT) | instid1(VALU_DEP_1)
	v_dual_add_nc_u32 v19, -1, v15 :: v_dual_cndmask_b32 v14, v14, v17, s2
	v_dual_add_nc_u32 v17, 1, v15 :: v_dual_fma_f32 v20, -v19, v15, v16
	s_delay_alu instid0(VALU_DEP_2) | instskip(NEXT) | instid1(VALU_DEP_1)
	v_sqrt_f32_e32 v21, v14
	v_fma_f32 v22, -v17, v15, v16
	s_delay_alu instid0(VALU_DEP_2)
	v_cmp_ge_f32_e64 s3, 0, v20
	s_delay_alu instid0(TRANS32_DEP_1) | instid1(VALU_DEP_1)
	v_dual_cndmask_b32 v15, v15, v19, s3 :: v_dual_add_nc_u32 v19, -1, v21
	s_delay_alu instid0(VALU_DEP_3) | instskip(NEXT) | instid1(VALU_DEP_1)
	v_cmp_lt_f32_e64 s3, 0, v22
	v_cndmask_b32_e64 v15, v15, v17, s3
	s_delay_alu instid0(VALU_DEP_3) | instskip(NEXT) | instid1(VALU_DEP_1)
	v_dual_add_nc_u32 v17, 1, v21 :: v_dual_fma_f32 v20, -v19, v21, v14
	v_fma_f32 v23, -v17, v21, v14
	s_delay_alu instid0(VALU_DEP_2) | instskip(NEXT) | instid1(VALU_DEP_1)
	v_cmp_ge_f32_e64 s3, 0, v20
	v_cndmask_b32_e64 v19, v21, v19, s3
	v_mul_f32_e32 v22, 0x37800000, v15
	s_delay_alu instid0(VALU_DEP_4) | instskip(NEXT) | instid1(VALU_DEP_1)
	v_cmp_lt_f32_e64 s3, 0, v23
	v_cndmask_b32_e64 v17, v19, v17, s3
	s_delay_alu instid0(VALU_DEP_3) | instskip(SKIP_1) | instid1(VALU_DEP_2)
	v_cndmask_b32_e32 v15, v15, v22, vcc_lo
	v_cmp_class_f32_e64 vcc_lo, v16, 0x260
	v_cndmask_b32_e32 v15, v15, v16, vcc_lo
	s_delay_alu instid0(VALU_DEP_1) | instskip(SKIP_3) | instid1(VALU_DEP_2)
	v_cmp_nge_f32_e32 vcc_lo, 1.0, v15
	v_cndmask_b32_e32 v12, v18, v12, vcc_lo
	v_mul_f32_e32 v16, 0x37800000, v17
	v_cmp_class_f32_e64 vcc_lo, v14, 0x260
	v_cndmask_b32_e64 v15, v17, v16, s2
	s_delay_alu instid0(VALU_DEP_1) | instskip(NEXT) | instid1(VALU_DEP_1)
	v_dual_add_f32 v16, 1.0, v12 :: v_dual_cndmask_b32 v14, v15, v14, vcc_lo
	v_cmp_nge_f32_e32 vcc_lo, 1.0, v14
	s_delay_alu instid0(VALU_DEP_2)
	v_cndmask_b32_e32 v12, v16, v12, vcc_lo
	s_cbranch_scc1 .LBB27_102
; %bb.103:
	v_add_nc_u32_e32 v13, 0x7f856816, v4
	s_movk_i32 s5, 0x2710
	s_brev_b32 s4, 12
	s_delay_alu instid0(VALU_DEP_1) | instskip(NEXT) | instid1(VALU_DEP_1)
	v_lshrrev_b32_e32 v14, 19, v13
	v_xor3_b32 v13, v13, v14, 0xc761c23c
	s_delay_alu instid0(VALU_DEP_1) | instskip(NEXT) | instid1(VALU_DEP_1)
	v_lshl_add_u32 v13, v13, 5, v13
	v_add_nc_u32_e32 v14, 0xe9f8cc1d, v13
	v_lshl_add_u32 v13, v13, 9, 0xaccf6200
	s_delay_alu instid0(VALU_DEP_1) | instskip(NEXT) | instid1(VALU_DEP_1)
	v_xor_b32_e32 v13, v14, v13
	v_lshlrev_b32_e32 v14, 3, v13
	s_delay_alu instid0(VALU_DEP_1) | instskip(NEXT) | instid1(VALU_DEP_1)
	v_add3_u32 v13, v13, v14, 0xfd7046c5
	v_lshrrev_b32_e32 v14, 16, v13
	s_delay_alu instid0(VALU_DEP_1) | instskip(NEXT) | instid1(VALU_DEP_1)
	v_xor3_b32 v13, v13, v14, 0xb55a4f09
	v_mul_hi_u32 v14, v13, 3
	s_delay_alu instid0(VALU_DEP_1) | instskip(NEXT) | instid1(VALU_DEP_1)
	v_sub_nc_u32_e32 v15, v13, v14
	v_lshrrev_b32_e32 v15, 1, v15
	s_delay_alu instid0(VALU_DEP_1) | instskip(NEXT) | instid1(VALU_DEP_1)
	v_add_nc_u32_e32 v14, v15, v14
	v_lshrrev_b32_e32 v14, 30, v14
	s_delay_alu instid0(VALU_DEP_1) | instskip(NEXT) | instid1(VALU_DEP_1)
	v_mul_lo_u32 v14, 0x7fffffff, v14
	v_sub_nc_u32_e32 v13, v13, v14
	s_delay_alu instid0(VALU_DEP_1)
	v_max_u32_e32 v14, 1, v13
	v_mov_b32_e32 v13, 0
.LBB27_104:                             ; =>This Inner Loop Header: Depth=1
	s_delay_alu instid0(VALU_DEP_2) | instskip(NEXT) | instid1(VALU_DEP_1)
	v_mul_hi_u32 v15, 0xbc8f1391, v14
	v_dual_add_f32 v20, 1.0, v13 :: v_dual_lshrrev_b32 v15, 15, v15
	s_delay_alu instid0(VALU_DEP_1) | instskip(NEXT) | instid1(VALU_DEP_1)
	v_mul_u32_u24_e32 v16, 0xadc8, v15
	v_sub_nc_u32_e32 v14, v14, v16
	v_mul_u32_u24_e32 v15, 0xd47, v15
	s_delay_alu instid0(VALU_DEP_2) | instskip(NEXT) | instid1(VALU_DEP_2)
	v_mul_lo_u32 v14, 0xbc8f, v14
	v_xor_b32_e32 v16, 0x7fffffff, v15
	v_sub_nc_u32_e32 v17, 0, v15
	s_delay_alu instid0(VALU_DEP_3) | instskip(NEXT) | instid1(VALU_DEP_2)
	v_cmp_lt_u32_e32 vcc_lo, v14, v15
	v_cndmask_b32_e32 v15, v17, v16, vcc_lo
	s_delay_alu instid0(VALU_DEP_1) | instskip(NEXT) | instid1(VALU_DEP_1)
	v_add_nc_u32_e32 v14, v15, v14
	v_mul_hi_u32 v15, 0xbc8f1391, v14
	s_delay_alu instid0(VALU_DEP_1) | instskip(NEXT) | instid1(VALU_DEP_1)
	v_lshrrev_b32_e32 v15, 15, v15
	v_mul_u32_u24_e32 v16, 0xadc8, v15
	v_mul_u32_u24_e32 v15, 0xd47, v15
	s_delay_alu instid0(VALU_DEP_2) | instskip(NEXT) | instid1(VALU_DEP_2)
	v_sub_nc_u32_e32 v16, v14, v16
	v_xor_b32_e32 v17, 0x7fffffff, v15
	v_add_nc_u32_e32 v14, -1, v14
	s_delay_alu instid0(VALU_DEP_3) | instskip(SKIP_1) | instid1(VALU_DEP_2)
	v_mul_lo_u32 v16, 0xbc8f, v16
	v_sub_nc_u32_e32 v18, 0, v15
	v_cmp_lt_u32_e32 vcc_lo, v16, v15
	s_delay_alu instid0(VALU_DEP_2) | instskip(NEXT) | instid1(VALU_DEP_1)
	v_cndmask_b32_e32 v15, v18, v17, vcc_lo
	v_add_nc_u32_e32 v15, v15, v16
	s_delay_alu instid0(VALU_DEP_1) | instskip(NEXT) | instid1(VALU_DEP_1)
	v_mul_hi_u32 v16, 0xbc8f1391, v15
	v_lshrrev_b32_e32 v16, 15, v16
	s_delay_alu instid0(VALU_DEP_1) | instskip(SKIP_1) | instid1(VALU_DEP_2)
	v_mul_u32_u24_e32 v17, 0xadc8, v16
	v_mul_u32_u24_e32 v16, 0xd47, v16
	v_sub_nc_u32_e32 v17, v15, v17
	s_delay_alu instid0(VALU_DEP_2) | instskip(SKIP_1) | instid1(VALU_DEP_3)
	v_xor_b32_e32 v18, 0x7fffffff, v16
	v_dual_sub_nc_u32 v19, 0, v16 :: v_dual_add_nc_u32 v15, -1, v15
	v_mul_lo_u32 v17, 0xbc8f, v17
	s_delay_alu instid0(VALU_DEP_1) | instskip(NEXT) | instid1(VALU_DEP_3)
	v_cmp_lt_u32_e32 vcc_lo, v17, v16
	v_cndmask_b32_e32 v16, v19, v18, vcc_lo
	s_delay_alu instid0(VALU_DEP_1) | instskip(NEXT) | instid1(VALU_DEP_1)
	v_add_nc_u32_e32 v18, v16, v17
	v_mul_hi_u32 v16, 0xbc8f1391, v18
	s_delay_alu instid0(VALU_DEP_1) | instskip(NEXT) | instid1(VALU_DEP_1)
	v_lshrrev_b32_e32 v16, 15, v16
	v_mul_u32_u24_e32 v17, 0xadc8, v16
	s_delay_alu instid0(VALU_DEP_1) | instskip(NEXT) | instid1(VALU_DEP_1)
	v_sub_nc_u32_e32 v17, v18, v17
	v_mul_lo_u32 v19, 0xbc8f, v17
	v_mul_u32_u24_e32 v17, 0xd47, v16
	v_cvt_f32_u32_e32 v16, v14
	s_delay_alu instid0(VALU_DEP_2) | instskip(SKIP_4) | instid1(VALU_DEP_2)
	v_xor_b32_e32 v14, 0x7fffffff, v17
	v_sub_nc_u32_e32 v21, 0, v17
	v_cmp_lt_u32_e32 vcc_lo, v19, v17
	v_cvt_f32_u32_e32 v17, v15
	v_add_nc_u32_e32 v15, -1, v18
	v_pk_fma_f32 v[16:17], v[16:17], s[4:5], 0 op_sel_hi:[1,0,0]
	s_delay_alu instid0(VALU_DEP_2) | instskip(NEXT) | instid1(VALU_DEP_2)
	v_cvt_f32_u32_e32 v18, v15
	v_pk_mul_f32 v[16:17], v[16:17], v[16:17]
	s_delay_alu instid0(VALU_DEP_1) | instskip(NEXT) | instid1(VALU_DEP_1)
	v_dual_cndmask_b32 v14, v21, v14 :: v_dual_add_f32 v15, v16, v17
	v_add_nc_u32_e32 v14, v14, v19
	s_delay_alu instid0(VALU_DEP_2) | instskip(NEXT) | instid1(VALU_DEP_2)
	v_cmp_gt_f32_e32 vcc_lo, 0xf800000, v15
	v_add_nc_u32_e32 v19, -1, v14
	s_delay_alu instid0(VALU_DEP_1) | instskip(NEXT) | instid1(VALU_DEP_1)
	v_cvt_f32_u32_e32 v19, v19
	v_pk_fma_f32 v[16:17], v[18:19], s[4:5], 0 op_sel_hi:[1,0,0]
	v_mul_f32_e32 v18, 0x4f800000, v15
	s_add_co_i32 s5, s5, -2
	s_delay_alu instid0(SALU_CYCLE_1) | instskip(NEXT) | instid1(VALU_DEP_2)
	s_cmp_lg_u32 s5, 0
	v_pk_mul_f32 v[16:17], v[16:17], v[16:17]
	s_delay_alu instid0(VALU_DEP_1) | instskip(NEXT) | instid1(VALU_DEP_1)
	v_dual_add_f32 v16, v16, v17 :: v_dual_cndmask_b32 v15, v15, v18
	v_mul_f32_e32 v18, 0x4f800000, v16
	s_delay_alu instid0(VALU_DEP_2)
	v_sqrt_f32_e32 v17, v15
	v_cmp_gt_f32_e64 s2, 0xf800000, v16
	s_delay_alu instid0(TRANS32_DEP_1) | instid1(VALU_DEP_1)
	v_dual_cndmask_b32 v16, v16, v18, s2 :: v_dual_add_nc_u32 v19, -1, v17
	v_add_nc_u32_e32 v18, 1, v17
	s_delay_alu instid0(VALU_DEP_2) | instskip(NEXT) | instid1(VALU_DEP_2)
	v_sqrt_f32_e32 v22, v16
	v_fma_f32 v21, -v19, v17, v15
	s_delay_alu instid0(VALU_DEP_1) | instskip(NEXT) | instid1(VALU_DEP_1)
	v_cmp_ge_f32_e64 s3, 0, v21
	v_dual_fma_f32 v23, -v18, v17, v15 :: v_dual_cndmask_b32 v17, v17, v19, s3
	s_delay_alu instid0(VALU_DEP_1) | instskip(NEXT) | instid1(TRANS32_DEP_1)
	v_cmp_lt_f32_e64 s3, 0, v23
	v_add_nc_u32_e32 v19, -1, v22
	s_delay_alu instid0(VALU_DEP_2) | instskip(NEXT) | instid1(VALU_DEP_2)
	v_cndmask_b32_e64 v17, v17, v18, s3
	v_dual_add_nc_u32 v18, 1, v22 :: v_dual_fma_f32 v21, -v19, v22, v16
	s_delay_alu instid0(VALU_DEP_1) | instskip(NEXT) | instid1(VALU_DEP_2)
	v_fma_f32 v24, -v18, v22, v16
	v_cmp_ge_f32_e64 s3, 0, v21
	s_delay_alu instid0(VALU_DEP_1) | instskip(SKIP_1) | instid1(VALU_DEP_4)
	v_cndmask_b32_e64 v19, v22, v19, s3
	v_mul_f32_e32 v23, 0x37800000, v17
	v_cmp_lt_f32_e64 s3, 0, v24
	s_delay_alu instid0(VALU_DEP_1) | instskip(SKIP_1) | instid1(VALU_DEP_2)
	v_dual_cndmask_b32 v17, v17, v23, vcc_lo :: v_dual_cndmask_b32 v18, v19, v18, s3
	v_cmp_class_f32_e64 vcc_lo, v15, 0x260
	v_cndmask_b32_e32 v15, v17, v15, vcc_lo
	s_delay_alu instid0(VALU_DEP_3) | instskip(NEXT) | instid1(VALU_DEP_2)
	v_mul_f32_e32 v17, 0x37800000, v18
	v_cmp_nge_f32_e32 vcc_lo, 1.0, v15
	s_delay_alu instid0(VALU_DEP_2) | instskip(SKIP_2) | instid1(VALU_DEP_1)
	v_cndmask_b32_e64 v15, v18, v17, s2
	v_cndmask_b32_e32 v13, v20, v13, vcc_lo
	v_cmp_class_f32_e64 vcc_lo, v16, 0x260
	v_dual_add_f32 v17, 1.0, v13 :: v_dual_cndmask_b32 v15, v15, v16, vcc_lo
	s_delay_alu instid0(VALU_DEP_1) | instskip(NEXT) | instid1(VALU_DEP_2)
	v_cmp_nge_f32_e32 vcc_lo, 1.0, v15
	v_cndmask_b32_e32 v13, v17, v13, vcc_lo
	s_cbranch_scc1 .LBB27_104
; %bb.105:
	v_add_nc_u32_e32 v14, 0x7f956916, v4
	s_movk_i32 s5, 0x2710
	s_brev_b32 s4, 12
	s_delay_alu instid0(VALU_DEP_1) | instskip(NEXT) | instid1(VALU_DEP_1)
	v_lshrrev_b32_e32 v15, 19, v14
	v_xor3_b32 v14, v14, v15, 0xc761c23c
	s_delay_alu instid0(VALU_DEP_1) | instskip(NEXT) | instid1(VALU_DEP_1)
	v_lshl_add_u32 v14, v14, 5, v14
	v_add_nc_u32_e32 v15, 0xe9f8cc1d, v14
	v_lshl_add_u32 v14, v14, 9, 0xaccf6200
	s_delay_alu instid0(VALU_DEP_1) | instskip(NEXT) | instid1(VALU_DEP_1)
	v_xor_b32_e32 v14, v15, v14
	v_lshlrev_b32_e32 v15, 3, v14
	s_delay_alu instid0(VALU_DEP_1) | instskip(NEXT) | instid1(VALU_DEP_1)
	v_add3_u32 v14, v14, v15, 0xfd7046c5
	v_lshrrev_b32_e32 v15, 16, v14
	s_delay_alu instid0(VALU_DEP_1) | instskip(NEXT) | instid1(VALU_DEP_1)
	v_xor3_b32 v14, v14, v15, 0xb55a4f09
	v_mul_hi_u32 v15, v14, 3
	s_delay_alu instid0(VALU_DEP_1) | instskip(NEXT) | instid1(VALU_DEP_1)
	v_sub_nc_u32_e32 v16, v14, v15
	v_lshrrev_b32_e32 v16, 1, v16
	s_delay_alu instid0(VALU_DEP_1) | instskip(NEXT) | instid1(VALU_DEP_1)
	v_add_nc_u32_e32 v15, v16, v15
	v_lshrrev_b32_e32 v15, 30, v15
	s_delay_alu instid0(VALU_DEP_1) | instskip(NEXT) | instid1(VALU_DEP_1)
	v_mul_lo_u32 v15, 0x7fffffff, v15
	v_sub_nc_u32_e32 v14, v14, v15
	s_delay_alu instid0(VALU_DEP_1)
	v_max_u32_e32 v15, 1, v14
	v_mov_b32_e32 v14, 0
.LBB27_106:                             ; =>This Inner Loop Header: Depth=1
	s_delay_alu instid0(VALU_DEP_2) | instskip(NEXT) | instid1(VALU_DEP_1)
	v_mul_hi_u32 v16, 0xbc8f1391, v15
	v_lshrrev_b32_e32 v16, 15, v16
	s_delay_alu instid0(VALU_DEP_1) | instskip(NEXT) | instid1(VALU_DEP_1)
	v_mul_u32_u24_e32 v17, 0xadc8, v16
	v_sub_nc_u32_e32 v15, v15, v17
	v_mul_u32_u24_e32 v16, 0xd47, v16
	s_delay_alu instid0(VALU_DEP_2) | instskip(NEXT) | instid1(VALU_DEP_2)
	v_mul_lo_u32 v15, 0xbc8f, v15
	v_xor_b32_e32 v17, 0x7fffffff, v16
	v_sub_nc_u32_e32 v18, 0, v16
	s_delay_alu instid0(VALU_DEP_3) | instskip(NEXT) | instid1(VALU_DEP_2)
	v_cmp_lt_u32_e32 vcc_lo, v15, v16
	v_cndmask_b32_e32 v16, v18, v17, vcc_lo
	s_delay_alu instid0(VALU_DEP_1) | instskip(NEXT) | instid1(VALU_DEP_1)
	v_add_nc_u32_e32 v15, v16, v15
	v_mul_hi_u32 v16, 0xbc8f1391, v15
	s_delay_alu instid0(VALU_DEP_1) | instskip(NEXT) | instid1(VALU_DEP_1)
	v_lshrrev_b32_e32 v16, 15, v16
	v_mul_u32_u24_e32 v17, 0xadc8, v16
	v_mul_u32_u24_e32 v16, 0xd47, v16
	s_delay_alu instid0(VALU_DEP_2) | instskip(NEXT) | instid1(VALU_DEP_2)
	v_sub_nc_u32_e32 v17, v15, v17
	v_xor_b32_e32 v18, 0x7fffffff, v16
	v_add_nc_u32_e32 v15, -1, v15
	s_delay_alu instid0(VALU_DEP_3) | instskip(SKIP_1) | instid1(VALU_DEP_2)
	v_mul_lo_u32 v17, 0xbc8f, v17
	v_sub_nc_u32_e32 v19, 0, v16
	v_cmp_lt_u32_e32 vcc_lo, v17, v16
	s_delay_alu instid0(VALU_DEP_2) | instskip(NEXT) | instid1(VALU_DEP_1)
	v_cndmask_b32_e32 v16, v19, v18, vcc_lo
	v_add_nc_u32_e32 v17, v16, v17
	s_delay_alu instid0(VALU_DEP_1) | instskip(NEXT) | instid1(VALU_DEP_1)
	v_mul_hi_u32 v16, 0xbc8f1391, v17
	v_lshrrev_b32_e32 v16, 15, v16
	s_delay_alu instid0(VALU_DEP_1) | instskip(SKIP_1) | instid1(VALU_DEP_2)
	v_mul_u32_u24_e32 v18, 0xadc8, v16
	v_mul_u32_u24_e32 v16, 0xd47, v16
	v_sub_nc_u32_e32 v18, v17, v18
	s_delay_alu instid0(VALU_DEP_2) | instskip(NEXT) | instid1(VALU_DEP_2)
	v_xor_b32_e32 v19, 0x7fffffff, v16
	v_mul_lo_u32 v18, 0xbc8f, v18
	v_sub_nc_u32_e32 v20, 0, v16
	s_delay_alu instid0(VALU_DEP_2) | instskip(NEXT) | instid1(VALU_DEP_2)
	v_cmp_lt_u32_e32 vcc_lo, v18, v16
	v_dual_cndmask_b32 v16, v20, v19, vcc_lo :: v_dual_add_f32 v20, 1.0, v14
	s_delay_alu instid0(VALU_DEP_1) | instskip(NEXT) | instid1(VALU_DEP_1)
	v_add_nc_u32_e32 v18, v16, v18
	v_mul_hi_u32 v16, 0xbc8f1391, v18
	s_delay_alu instid0(VALU_DEP_1) | instskip(NEXT) | instid1(VALU_DEP_1)
	v_lshrrev_b32_e32 v16, 15, v16
	v_mul_u32_u24_e32 v19, 0xadc8, v16
	v_mul_u32_u24_e32 v21, 0xd47, v16
	v_cvt_f32_u32_e32 v16, v15
	s_delay_alu instid0(VALU_DEP_3) | instskip(NEXT) | instid1(VALU_DEP_3)
	v_sub_nc_u32_e32 v19, v18, v19
	v_xor_b32_e32 v15, 0x7fffffff, v21
	v_dual_sub_nc_u32 v22, 0, v21 :: v_dual_add_nc_u32 v18, -1, v18
	s_delay_alu instid0(VALU_DEP_3) | instskip(NEXT) | instid1(VALU_DEP_2)
	v_mul_lo_u32 v19, 0xbc8f, v19
	v_cvt_f32_u32_e32 v18, v18
	s_delay_alu instid0(VALU_DEP_2) | instskip(NEXT) | instid1(VALU_DEP_4)
	v_cmp_lt_u32_e32 vcc_lo, v19, v21
	v_dual_add_nc_u32 v17, -1, v17 :: v_dual_cndmask_b32 v15, v22, v15, vcc_lo
	s_delay_alu instid0(VALU_DEP_1) | instskip(NEXT) | instid1(VALU_DEP_2)
	v_cvt_f32_u32_e32 v17, v17
	v_add_nc_u32_e32 v15, v15, v19
	s_delay_alu instid0(VALU_DEP_2) | instskip(NEXT) | instid1(VALU_DEP_1)
	v_pk_fma_f32 v[16:17], v[16:17], s[4:5], 0 op_sel_hi:[1,0,0]
	v_pk_mul_f32 v[16:17], v[16:17], v[16:17]
	s_delay_alu instid0(VALU_DEP_1) | instskip(NEXT) | instid1(VALU_DEP_1)
	v_dual_add_nc_u32 v19, -1, v15 :: v_dual_add_f32 v21, v16, v17
	v_cvt_f32_u32_e32 v19, v19
	s_delay_alu instid0(VALU_DEP_2) | instskip(NEXT) | instid1(VALU_DEP_2)
	v_cmp_gt_f32_e32 vcc_lo, 0xf800000, v21
	v_pk_fma_f32 v[16:17], v[18:19], s[4:5], 0 op_sel_hi:[1,0,0]
	s_add_co_i32 s5, s5, -2
	s_delay_alu instid0(SALU_CYCLE_1) | instskip(NEXT) | instid1(VALU_DEP_1)
	s_cmp_lg_u32 s5, 0
	v_pk_mul_f32 v[16:17], v[16:17], v[16:17]
	s_delay_alu instid0(VALU_DEP_1) | instskip(NEXT) | instid1(VALU_DEP_1)
	v_add_f32_e32 v16, v16, v17
	v_dual_mul_f32 v18, 0x4f800000, v21 :: v_dual_mul_f32 v19, 0x4f800000, v16
	s_delay_alu instid0(VALU_DEP_1) | instskip(SKIP_1) | instid1(VALU_DEP_2)
	v_cndmask_b32_e32 v18, v21, v18, vcc_lo
	v_cmp_gt_f32_e64 s2, 0xf800000, v16
	v_sqrt_f32_e32 v17, v18
	v_nop
	s_delay_alu instid0(TRANS32_DEP_1) | instskip(NEXT) | instid1(VALU_DEP_1)
	v_dual_add_nc_u32 v21, -1, v17 :: v_dual_cndmask_b32 v16, v16, v19, s2
	v_dual_add_nc_u32 v19, 1, v17 :: v_dual_fma_f32 v22, -v21, v17, v18
	s_delay_alu instid0(VALU_DEP_2) | instskip(NEXT) | instid1(VALU_DEP_1)
	v_sqrt_f32_e32 v23, v16
	v_fma_f32 v24, -v19, v17, v18
	s_delay_alu instid0(VALU_DEP_2)
	v_cmp_ge_f32_e64 s3, 0, v22
	s_delay_alu instid0(TRANS32_DEP_1) | instid1(VALU_DEP_1)
	v_dual_cndmask_b32 v17, v17, v21, s3 :: v_dual_add_nc_u32 v21, -1, v23
	s_delay_alu instid0(VALU_DEP_3) | instskip(NEXT) | instid1(VALU_DEP_1)
	v_cmp_lt_f32_e64 s3, 0, v24
	v_cndmask_b32_e64 v17, v17, v19, s3
	s_delay_alu instid0(VALU_DEP_3) | instskip(NEXT) | instid1(VALU_DEP_1)
	v_dual_add_nc_u32 v19, 1, v23 :: v_dual_fma_f32 v22, -v21, v23, v16
	v_fma_f32 v25, -v19, v23, v16
	s_delay_alu instid0(VALU_DEP_2) | instskip(NEXT) | instid1(VALU_DEP_1)
	v_cmp_ge_f32_e64 s3, 0, v22
	v_cndmask_b32_e64 v21, v23, v21, s3
	v_mul_f32_e32 v24, 0x37800000, v17
	s_delay_alu instid0(VALU_DEP_4) | instskip(NEXT) | instid1(VALU_DEP_1)
	v_cmp_lt_f32_e64 s3, 0, v25
	v_cndmask_b32_e64 v19, v21, v19, s3
	s_delay_alu instid0(VALU_DEP_3) | instskip(SKIP_1) | instid1(VALU_DEP_2)
	v_cndmask_b32_e32 v17, v17, v24, vcc_lo
	v_cmp_class_f32_e64 vcc_lo, v18, 0x260
	v_cndmask_b32_e32 v17, v17, v18, vcc_lo
	s_delay_alu instid0(VALU_DEP_1) | instskip(SKIP_3) | instid1(VALU_DEP_2)
	v_cmp_nge_f32_e32 vcc_lo, 1.0, v17
	v_cndmask_b32_e32 v14, v20, v14, vcc_lo
	v_mul_f32_e32 v18, 0x37800000, v19
	v_cmp_class_f32_e64 vcc_lo, v16, 0x260
	v_cndmask_b32_e64 v17, v19, v18, s2
	s_delay_alu instid0(VALU_DEP_1) | instskip(NEXT) | instid1(VALU_DEP_1)
	v_dual_add_f32 v18, 1.0, v14 :: v_dual_cndmask_b32 v16, v17, v16, vcc_lo
	v_cmp_nge_f32_e32 vcc_lo, 1.0, v16
	s_delay_alu instid0(VALU_DEP_2)
	v_cndmask_b32_e32 v14, v18, v14, vcc_lo
	s_cbranch_scc1 .LBB27_106
; %bb.107:
	v_add_nc_u32_e32 v15, 0x7fa56a16, v4
	s_movk_i32 s5, 0x2710
	s_brev_b32 s4, 12
	s_delay_alu instid0(VALU_DEP_1) | instskip(NEXT) | instid1(VALU_DEP_1)
	v_lshrrev_b32_e32 v16, 19, v15
	v_xor3_b32 v15, v15, v16, 0xc761c23c
	s_delay_alu instid0(VALU_DEP_1) | instskip(NEXT) | instid1(VALU_DEP_1)
	v_lshl_add_u32 v15, v15, 5, v15
	v_add_nc_u32_e32 v16, 0xe9f8cc1d, v15
	v_lshl_add_u32 v15, v15, 9, 0xaccf6200
	s_delay_alu instid0(VALU_DEP_1) | instskip(NEXT) | instid1(VALU_DEP_1)
	v_xor_b32_e32 v15, v16, v15
	v_lshlrev_b32_e32 v16, 3, v15
	s_delay_alu instid0(VALU_DEP_1) | instskip(NEXT) | instid1(VALU_DEP_1)
	v_add3_u32 v15, v15, v16, 0xfd7046c5
	v_lshrrev_b32_e32 v16, 16, v15
	s_delay_alu instid0(VALU_DEP_1) | instskip(NEXT) | instid1(VALU_DEP_1)
	v_xor3_b32 v15, v15, v16, 0xb55a4f09
	v_mul_hi_u32 v16, v15, 3
	s_delay_alu instid0(VALU_DEP_1) | instskip(NEXT) | instid1(VALU_DEP_1)
	v_sub_nc_u32_e32 v17, v15, v16
	v_lshrrev_b32_e32 v17, 1, v17
	s_delay_alu instid0(VALU_DEP_1) | instskip(NEXT) | instid1(VALU_DEP_1)
	v_add_nc_u32_e32 v16, v17, v16
	v_lshrrev_b32_e32 v16, 30, v16
	s_delay_alu instid0(VALU_DEP_1) | instskip(NEXT) | instid1(VALU_DEP_1)
	v_mul_lo_u32 v16, 0x7fffffff, v16
	v_sub_nc_u32_e32 v15, v15, v16
	s_delay_alu instid0(VALU_DEP_1)
	v_max_u32_e32 v16, 1, v15
	v_mov_b32_e32 v15, 0
.LBB27_108:                             ; =>This Inner Loop Header: Depth=1
	s_delay_alu instid0(VALU_DEP_2) | instskip(NEXT) | instid1(VALU_DEP_1)
	v_mul_hi_u32 v17, 0xbc8f1391, v16
	v_dual_add_f32 v22, 1.0, v15 :: v_dual_lshrrev_b32 v17, 15, v17
	s_delay_alu instid0(VALU_DEP_1) | instskip(NEXT) | instid1(VALU_DEP_1)
	v_mul_u32_u24_e32 v18, 0xadc8, v17
	v_sub_nc_u32_e32 v16, v16, v18
	v_mul_u32_u24_e32 v17, 0xd47, v17
	s_delay_alu instid0(VALU_DEP_2) | instskip(NEXT) | instid1(VALU_DEP_2)
	v_mul_lo_u32 v16, 0xbc8f, v16
	v_xor_b32_e32 v18, 0x7fffffff, v17
	v_sub_nc_u32_e32 v19, 0, v17
	s_delay_alu instid0(VALU_DEP_3) | instskip(NEXT) | instid1(VALU_DEP_2)
	v_cmp_lt_u32_e32 vcc_lo, v16, v17
	v_cndmask_b32_e32 v17, v19, v18, vcc_lo
	s_delay_alu instid0(VALU_DEP_1) | instskip(NEXT) | instid1(VALU_DEP_1)
	v_add_nc_u32_e32 v16, v17, v16
	v_mul_hi_u32 v17, 0xbc8f1391, v16
	s_delay_alu instid0(VALU_DEP_1) | instskip(NEXT) | instid1(VALU_DEP_1)
	v_lshrrev_b32_e32 v17, 15, v17
	v_mul_u32_u24_e32 v18, 0xadc8, v17
	v_mul_u32_u24_e32 v17, 0xd47, v17
	s_delay_alu instid0(VALU_DEP_2) | instskip(NEXT) | instid1(VALU_DEP_2)
	v_sub_nc_u32_e32 v18, v16, v18
	v_xor_b32_e32 v19, 0x7fffffff, v17
	v_add_nc_u32_e32 v16, -1, v16
	s_delay_alu instid0(VALU_DEP_3) | instskip(SKIP_1) | instid1(VALU_DEP_2)
	v_mul_lo_u32 v18, 0xbc8f, v18
	v_sub_nc_u32_e32 v20, 0, v17
	v_cmp_lt_u32_e32 vcc_lo, v18, v17
	s_delay_alu instid0(VALU_DEP_2) | instskip(NEXT) | instid1(VALU_DEP_1)
	v_cndmask_b32_e32 v17, v20, v19, vcc_lo
	v_add_nc_u32_e32 v17, v17, v18
	s_delay_alu instid0(VALU_DEP_1) | instskip(NEXT) | instid1(VALU_DEP_1)
	v_mul_hi_u32 v18, 0xbc8f1391, v17
	v_lshrrev_b32_e32 v18, 15, v18
	s_delay_alu instid0(VALU_DEP_1) | instskip(SKIP_1) | instid1(VALU_DEP_2)
	v_mul_u32_u24_e32 v19, 0xadc8, v18
	v_mul_u32_u24_e32 v18, 0xd47, v18
	v_sub_nc_u32_e32 v19, v17, v19
	s_delay_alu instid0(VALU_DEP_2) | instskip(SKIP_1) | instid1(VALU_DEP_3)
	v_xor_b32_e32 v20, 0x7fffffff, v18
	v_dual_sub_nc_u32 v21, 0, v18 :: v_dual_add_nc_u32 v17, -1, v17
	v_mul_lo_u32 v19, 0xbc8f, v19
	s_delay_alu instid0(VALU_DEP_1) | instskip(NEXT) | instid1(VALU_DEP_3)
	v_cmp_lt_u32_e32 vcc_lo, v19, v18
	v_cndmask_b32_e32 v18, v21, v20, vcc_lo
	s_delay_alu instid0(VALU_DEP_1) | instskip(NEXT) | instid1(VALU_DEP_1)
	v_add_nc_u32_e32 v20, v18, v19
	v_mul_hi_u32 v18, 0xbc8f1391, v20
	s_delay_alu instid0(VALU_DEP_1) | instskip(NEXT) | instid1(VALU_DEP_1)
	v_lshrrev_b32_e32 v18, 15, v18
	v_mul_u32_u24_e32 v19, 0xadc8, v18
	s_delay_alu instid0(VALU_DEP_1) | instskip(NEXT) | instid1(VALU_DEP_1)
	v_sub_nc_u32_e32 v19, v20, v19
	v_mul_lo_u32 v21, 0xbc8f, v19
	v_mul_u32_u24_e32 v19, 0xd47, v18
	v_cvt_f32_u32_e32 v18, v16
	s_delay_alu instid0(VALU_DEP_2) | instskip(SKIP_4) | instid1(VALU_DEP_2)
	v_xor_b32_e32 v16, 0x7fffffff, v19
	v_sub_nc_u32_e32 v23, 0, v19
	v_cmp_lt_u32_e32 vcc_lo, v21, v19
	v_cvt_f32_u32_e32 v19, v17
	v_add_nc_u32_e32 v17, -1, v20
	v_pk_fma_f32 v[18:19], v[18:19], s[4:5], 0 op_sel_hi:[1,0,0]
	s_delay_alu instid0(VALU_DEP_2) | instskip(NEXT) | instid1(VALU_DEP_2)
	v_cvt_f32_u32_e32 v20, v17
	v_pk_mul_f32 v[18:19], v[18:19], v[18:19]
	s_delay_alu instid0(VALU_DEP_1) | instskip(NEXT) | instid1(VALU_DEP_1)
	v_dual_cndmask_b32 v16, v23, v16 :: v_dual_add_f32 v17, v18, v19
	v_add_nc_u32_e32 v16, v16, v21
	s_delay_alu instid0(VALU_DEP_2) | instskip(NEXT) | instid1(VALU_DEP_2)
	v_cmp_gt_f32_e32 vcc_lo, 0xf800000, v17
	v_add_nc_u32_e32 v21, -1, v16
	s_delay_alu instid0(VALU_DEP_1) | instskip(NEXT) | instid1(VALU_DEP_1)
	v_cvt_f32_u32_e32 v21, v21
	v_pk_fma_f32 v[18:19], v[20:21], s[4:5], 0 op_sel_hi:[1,0,0]
	v_mul_f32_e32 v20, 0x4f800000, v17
	s_add_co_i32 s5, s5, -2
	s_delay_alu instid0(SALU_CYCLE_1) | instskip(NEXT) | instid1(VALU_DEP_2)
	s_cmp_lg_u32 s5, 0
	v_pk_mul_f32 v[18:19], v[18:19], v[18:19]
	s_delay_alu instid0(VALU_DEP_1) | instskip(NEXT) | instid1(VALU_DEP_1)
	v_dual_add_f32 v18, v18, v19 :: v_dual_cndmask_b32 v17, v17, v20
	v_mul_f32_e32 v20, 0x4f800000, v18
	s_delay_alu instid0(VALU_DEP_2)
	v_sqrt_f32_e32 v19, v17
	v_cmp_gt_f32_e64 s2, 0xf800000, v18
	s_delay_alu instid0(TRANS32_DEP_1) | instid1(VALU_DEP_1)
	v_dual_cndmask_b32 v18, v18, v20, s2 :: v_dual_add_nc_u32 v21, -1, v19
	v_add_nc_u32_e32 v20, 1, v19
	s_delay_alu instid0(VALU_DEP_2) | instskip(NEXT) | instid1(VALU_DEP_2)
	v_sqrt_f32_e32 v24, v18
	v_fma_f32 v23, -v21, v19, v17
	s_delay_alu instid0(VALU_DEP_1) | instskip(NEXT) | instid1(VALU_DEP_1)
	v_cmp_ge_f32_e64 s3, 0, v23
	v_dual_fma_f32 v25, -v20, v19, v17 :: v_dual_cndmask_b32 v19, v19, v21, s3
	s_delay_alu instid0(VALU_DEP_1) | instskip(NEXT) | instid1(TRANS32_DEP_1)
	v_cmp_lt_f32_e64 s3, 0, v25
	v_add_nc_u32_e32 v21, -1, v24
	s_delay_alu instid0(VALU_DEP_2) | instskip(NEXT) | instid1(VALU_DEP_2)
	v_cndmask_b32_e64 v19, v19, v20, s3
	v_dual_add_nc_u32 v20, 1, v24 :: v_dual_fma_f32 v23, -v21, v24, v18
	s_delay_alu instid0(VALU_DEP_1) | instskip(NEXT) | instid1(VALU_DEP_2)
	v_fma_f32 v26, -v20, v24, v18
	v_cmp_ge_f32_e64 s3, 0, v23
	s_delay_alu instid0(VALU_DEP_1) | instskip(SKIP_1) | instid1(VALU_DEP_4)
	v_cndmask_b32_e64 v21, v24, v21, s3
	v_mul_f32_e32 v25, 0x37800000, v19
	v_cmp_lt_f32_e64 s3, 0, v26
	s_delay_alu instid0(VALU_DEP_1) | instskip(SKIP_1) | instid1(VALU_DEP_2)
	v_dual_cndmask_b32 v19, v19, v25, vcc_lo :: v_dual_cndmask_b32 v20, v21, v20, s3
	v_cmp_class_f32_e64 vcc_lo, v17, 0x260
	v_cndmask_b32_e32 v17, v19, v17, vcc_lo
	s_delay_alu instid0(VALU_DEP_3) | instskip(NEXT) | instid1(VALU_DEP_2)
	v_mul_f32_e32 v19, 0x37800000, v20
	v_cmp_nge_f32_e32 vcc_lo, 1.0, v17
	s_delay_alu instid0(VALU_DEP_2) | instskip(SKIP_2) | instid1(VALU_DEP_1)
	v_cndmask_b32_e64 v17, v20, v19, s2
	v_cndmask_b32_e32 v15, v22, v15, vcc_lo
	v_cmp_class_f32_e64 vcc_lo, v18, 0x260
	v_dual_add_f32 v19, 1.0, v15 :: v_dual_cndmask_b32 v17, v17, v18, vcc_lo
	s_delay_alu instid0(VALU_DEP_1) | instskip(NEXT) | instid1(VALU_DEP_2)
	v_cmp_nge_f32_e32 vcc_lo, 1.0, v17
	v_cndmask_b32_e32 v15, v19, v15, vcc_lo
	s_cbranch_scc1 .LBB27_108
; %bb.109:
	v_add_nc_u32_e32 v16, 0x7fb56b16, v4
	s_movk_i32 s5, 0x2710
	s_brev_b32 s4, 12
	s_delay_alu instid0(VALU_DEP_1) | instskip(NEXT) | instid1(VALU_DEP_1)
	v_lshrrev_b32_e32 v17, 19, v16
	v_xor3_b32 v16, v16, v17, 0xc761c23c
	s_delay_alu instid0(VALU_DEP_1) | instskip(NEXT) | instid1(VALU_DEP_1)
	v_lshl_add_u32 v16, v16, 5, v16
	v_add_nc_u32_e32 v17, 0xe9f8cc1d, v16
	v_lshl_add_u32 v16, v16, 9, 0xaccf6200
	s_delay_alu instid0(VALU_DEP_1) | instskip(NEXT) | instid1(VALU_DEP_1)
	v_xor_b32_e32 v16, v17, v16
	v_lshlrev_b32_e32 v17, 3, v16
	s_delay_alu instid0(VALU_DEP_1) | instskip(NEXT) | instid1(VALU_DEP_1)
	v_add3_u32 v16, v16, v17, 0xfd7046c5
	v_lshrrev_b32_e32 v17, 16, v16
	s_delay_alu instid0(VALU_DEP_1) | instskip(NEXT) | instid1(VALU_DEP_1)
	v_xor3_b32 v16, v16, v17, 0xb55a4f09
	v_mul_hi_u32 v17, v16, 3
	s_delay_alu instid0(VALU_DEP_1) | instskip(NEXT) | instid1(VALU_DEP_1)
	v_sub_nc_u32_e32 v18, v16, v17
	v_lshrrev_b32_e32 v18, 1, v18
	s_delay_alu instid0(VALU_DEP_1) | instskip(NEXT) | instid1(VALU_DEP_1)
	v_add_nc_u32_e32 v17, v18, v17
	v_lshrrev_b32_e32 v17, 30, v17
	s_delay_alu instid0(VALU_DEP_1) | instskip(NEXT) | instid1(VALU_DEP_1)
	v_mul_lo_u32 v17, 0x7fffffff, v17
	v_sub_nc_u32_e32 v16, v16, v17
	s_delay_alu instid0(VALU_DEP_1)
	v_max_u32_e32 v17, 1, v16
	v_mov_b32_e32 v16, 0
.LBB27_110:                             ; =>This Inner Loop Header: Depth=1
	s_delay_alu instid0(VALU_DEP_2) | instskip(NEXT) | instid1(VALU_DEP_1)
	v_mul_hi_u32 v18, 0xbc8f1391, v17
	v_lshrrev_b32_e32 v18, 15, v18
	s_delay_alu instid0(VALU_DEP_1) | instskip(NEXT) | instid1(VALU_DEP_1)
	v_mul_u32_u24_e32 v19, 0xadc8, v18
	v_sub_nc_u32_e32 v17, v17, v19
	v_mul_u32_u24_e32 v18, 0xd47, v18
	s_delay_alu instid0(VALU_DEP_2) | instskip(NEXT) | instid1(VALU_DEP_2)
	v_mul_lo_u32 v17, 0xbc8f, v17
	v_xor_b32_e32 v19, 0x7fffffff, v18
	v_sub_nc_u32_e32 v20, 0, v18
	s_delay_alu instid0(VALU_DEP_3) | instskip(NEXT) | instid1(VALU_DEP_2)
	v_cmp_lt_u32_e32 vcc_lo, v17, v18
	v_cndmask_b32_e32 v18, v20, v19, vcc_lo
	s_delay_alu instid0(VALU_DEP_1) | instskip(NEXT) | instid1(VALU_DEP_1)
	v_add_nc_u32_e32 v17, v18, v17
	v_mul_hi_u32 v18, 0xbc8f1391, v17
	s_delay_alu instid0(VALU_DEP_1) | instskip(NEXT) | instid1(VALU_DEP_1)
	v_lshrrev_b32_e32 v18, 15, v18
	v_mul_u32_u24_e32 v19, 0xadc8, v18
	v_mul_u32_u24_e32 v18, 0xd47, v18
	s_delay_alu instid0(VALU_DEP_2) | instskip(NEXT) | instid1(VALU_DEP_2)
	v_sub_nc_u32_e32 v19, v17, v19
	v_xor_b32_e32 v20, 0x7fffffff, v18
	v_add_nc_u32_e32 v17, -1, v17
	s_delay_alu instid0(VALU_DEP_3) | instskip(SKIP_1) | instid1(VALU_DEP_2)
	v_mul_lo_u32 v19, 0xbc8f, v19
	v_sub_nc_u32_e32 v21, 0, v18
	v_cmp_lt_u32_e32 vcc_lo, v19, v18
	s_delay_alu instid0(VALU_DEP_2) | instskip(NEXT) | instid1(VALU_DEP_1)
	v_cndmask_b32_e32 v18, v21, v20, vcc_lo
	v_add_nc_u32_e32 v19, v18, v19
	s_delay_alu instid0(VALU_DEP_1) | instskip(NEXT) | instid1(VALU_DEP_1)
	v_mul_hi_u32 v18, 0xbc8f1391, v19
	v_lshrrev_b32_e32 v18, 15, v18
	s_delay_alu instid0(VALU_DEP_1) | instskip(SKIP_1) | instid1(VALU_DEP_2)
	v_mul_u32_u24_e32 v20, 0xadc8, v18
	v_mul_u32_u24_e32 v18, 0xd47, v18
	v_sub_nc_u32_e32 v20, v19, v20
	s_delay_alu instid0(VALU_DEP_2) | instskip(NEXT) | instid1(VALU_DEP_2)
	v_xor_b32_e32 v21, 0x7fffffff, v18
	v_mul_lo_u32 v20, 0xbc8f, v20
	v_sub_nc_u32_e32 v22, 0, v18
	s_delay_alu instid0(VALU_DEP_2) | instskip(NEXT) | instid1(VALU_DEP_2)
	v_cmp_lt_u32_e32 vcc_lo, v20, v18
	v_dual_cndmask_b32 v18, v22, v21, vcc_lo :: v_dual_add_f32 v22, 1.0, v16
	s_delay_alu instid0(VALU_DEP_1) | instskip(NEXT) | instid1(VALU_DEP_1)
	v_add_nc_u32_e32 v20, v18, v20
	v_mul_hi_u32 v18, 0xbc8f1391, v20
	s_delay_alu instid0(VALU_DEP_1) | instskip(NEXT) | instid1(VALU_DEP_1)
	v_lshrrev_b32_e32 v18, 15, v18
	v_mul_u32_u24_e32 v21, 0xadc8, v18
	v_mul_u32_u24_e32 v23, 0xd47, v18
	v_cvt_f32_u32_e32 v18, v17
	s_delay_alu instid0(VALU_DEP_3) | instskip(NEXT) | instid1(VALU_DEP_3)
	v_sub_nc_u32_e32 v21, v20, v21
	v_xor_b32_e32 v17, 0x7fffffff, v23
	v_dual_sub_nc_u32 v24, 0, v23 :: v_dual_add_nc_u32 v20, -1, v20
	s_delay_alu instid0(VALU_DEP_3) | instskip(NEXT) | instid1(VALU_DEP_2)
	v_mul_lo_u32 v21, 0xbc8f, v21
	v_cvt_f32_u32_e32 v20, v20
	s_delay_alu instid0(VALU_DEP_2) | instskip(NEXT) | instid1(VALU_DEP_4)
	v_cmp_lt_u32_e32 vcc_lo, v21, v23
	v_dual_add_nc_u32 v19, -1, v19 :: v_dual_cndmask_b32 v17, v24, v17, vcc_lo
	s_delay_alu instid0(VALU_DEP_1) | instskip(NEXT) | instid1(VALU_DEP_2)
	v_cvt_f32_u32_e32 v19, v19
	v_add_nc_u32_e32 v17, v17, v21
	s_delay_alu instid0(VALU_DEP_2) | instskip(NEXT) | instid1(VALU_DEP_1)
	v_pk_fma_f32 v[18:19], v[18:19], s[4:5], 0 op_sel_hi:[1,0,0]
	v_pk_mul_f32 v[18:19], v[18:19], v[18:19]
	s_delay_alu instid0(VALU_DEP_1) | instskip(NEXT) | instid1(VALU_DEP_1)
	v_dual_add_nc_u32 v21, -1, v17 :: v_dual_add_f32 v23, v18, v19
	v_cvt_f32_u32_e32 v21, v21
	s_delay_alu instid0(VALU_DEP_2) | instskip(NEXT) | instid1(VALU_DEP_2)
	v_cmp_gt_f32_e32 vcc_lo, 0xf800000, v23
	v_pk_fma_f32 v[18:19], v[20:21], s[4:5], 0 op_sel_hi:[1,0,0]
	s_add_co_i32 s5, s5, -2
	s_delay_alu instid0(SALU_CYCLE_1) | instskip(NEXT) | instid1(VALU_DEP_1)
	s_cmp_lg_u32 s5, 0
	v_pk_mul_f32 v[18:19], v[18:19], v[18:19]
	s_delay_alu instid0(VALU_DEP_1) | instskip(NEXT) | instid1(VALU_DEP_1)
	v_add_f32_e32 v18, v18, v19
	v_dual_mul_f32 v20, 0x4f800000, v23 :: v_dual_mul_f32 v21, 0x4f800000, v18
	s_delay_alu instid0(VALU_DEP_1) | instskip(SKIP_1) | instid1(VALU_DEP_2)
	v_cndmask_b32_e32 v20, v23, v20, vcc_lo
	v_cmp_gt_f32_e64 s2, 0xf800000, v18
	v_sqrt_f32_e32 v19, v20
	v_nop
	s_delay_alu instid0(TRANS32_DEP_1) | instskip(NEXT) | instid1(VALU_DEP_1)
	v_dual_add_nc_u32 v23, -1, v19 :: v_dual_cndmask_b32 v18, v18, v21, s2
	v_dual_add_nc_u32 v21, 1, v19 :: v_dual_fma_f32 v24, -v23, v19, v20
	s_delay_alu instid0(VALU_DEP_2) | instskip(NEXT) | instid1(VALU_DEP_1)
	v_sqrt_f32_e32 v25, v18
	v_fma_f32 v26, -v21, v19, v20
	s_delay_alu instid0(VALU_DEP_2)
	v_cmp_ge_f32_e64 s3, 0, v24
	s_delay_alu instid0(TRANS32_DEP_1) | instid1(VALU_DEP_1)
	v_dual_cndmask_b32 v19, v19, v23, s3 :: v_dual_add_nc_u32 v23, -1, v25
	s_delay_alu instid0(VALU_DEP_3) | instskip(NEXT) | instid1(VALU_DEP_1)
	v_cmp_lt_f32_e64 s3, 0, v26
	v_cndmask_b32_e64 v19, v19, v21, s3
	s_delay_alu instid0(VALU_DEP_3) | instskip(NEXT) | instid1(VALU_DEP_1)
	v_dual_add_nc_u32 v21, 1, v25 :: v_dual_fma_f32 v24, -v23, v25, v18
	v_fma_f32 v27, -v21, v25, v18
	s_delay_alu instid0(VALU_DEP_2) | instskip(NEXT) | instid1(VALU_DEP_1)
	v_cmp_ge_f32_e64 s3, 0, v24
	v_cndmask_b32_e64 v23, v25, v23, s3
	v_mul_f32_e32 v26, 0x37800000, v19
	s_delay_alu instid0(VALU_DEP_4) | instskip(NEXT) | instid1(VALU_DEP_1)
	v_cmp_lt_f32_e64 s3, 0, v27
	v_cndmask_b32_e64 v21, v23, v21, s3
	s_delay_alu instid0(VALU_DEP_3) | instskip(SKIP_1) | instid1(VALU_DEP_2)
	v_cndmask_b32_e32 v19, v19, v26, vcc_lo
	v_cmp_class_f32_e64 vcc_lo, v20, 0x260
	v_cndmask_b32_e32 v19, v19, v20, vcc_lo
	s_delay_alu instid0(VALU_DEP_1) | instskip(SKIP_3) | instid1(VALU_DEP_2)
	v_cmp_nge_f32_e32 vcc_lo, 1.0, v19
	v_cndmask_b32_e32 v16, v22, v16, vcc_lo
	v_mul_f32_e32 v20, 0x37800000, v21
	v_cmp_class_f32_e64 vcc_lo, v18, 0x260
	v_cndmask_b32_e64 v19, v21, v20, s2
	s_delay_alu instid0(VALU_DEP_1) | instskip(NEXT) | instid1(VALU_DEP_1)
	v_dual_add_f32 v20, 1.0, v16 :: v_dual_cndmask_b32 v18, v19, v18, vcc_lo
	v_cmp_nge_f32_e32 vcc_lo, 1.0, v18
	s_delay_alu instid0(VALU_DEP_2)
	v_cndmask_b32_e32 v16, v20, v16, vcc_lo
	s_cbranch_scc1 .LBB27_110
; %bb.111:
	v_add_nc_u32_e32 v4, 0x7fc56c16, v4
	s_movk_i32 s5, 0x2710
	s_brev_b32 s4, 12
	s_delay_alu instid0(VALU_DEP_1) | instskip(NEXT) | instid1(VALU_DEP_1)
	v_lshrrev_b32_e32 v17, 19, v4
	v_xor3_b32 v4, v4, v17, 0xc761c23c
	s_delay_alu instid0(VALU_DEP_1) | instskip(NEXT) | instid1(VALU_DEP_1)
	v_lshl_add_u32 v4, v4, 5, v4
	v_add_nc_u32_e32 v17, 0xe9f8cc1d, v4
	v_lshl_add_u32 v4, v4, 9, 0xaccf6200
	s_delay_alu instid0(VALU_DEP_1) | instskip(NEXT) | instid1(VALU_DEP_1)
	v_xor_b32_e32 v4, v17, v4
	v_lshlrev_b32_e32 v17, 3, v4
	s_delay_alu instid0(VALU_DEP_1) | instskip(NEXT) | instid1(VALU_DEP_1)
	v_add3_u32 v4, v4, v17, 0xfd7046c5
	v_lshrrev_b32_e32 v17, 16, v4
	s_delay_alu instid0(VALU_DEP_1) | instskip(NEXT) | instid1(VALU_DEP_1)
	v_xor3_b32 v4, v4, v17, 0xb55a4f09
	v_mul_hi_u32 v17, v4, 3
	s_delay_alu instid0(VALU_DEP_1) | instskip(NEXT) | instid1(VALU_DEP_1)
	v_sub_nc_u32_e32 v18, v4, v17
	v_lshrrev_b32_e32 v18, 1, v18
	s_delay_alu instid0(VALU_DEP_1) | instskip(NEXT) | instid1(VALU_DEP_1)
	v_add_nc_u32_e32 v17, v18, v17
	v_lshrrev_b32_e32 v17, 30, v17
	s_delay_alu instid0(VALU_DEP_1) | instskip(NEXT) | instid1(VALU_DEP_1)
	v_mul_lo_u32 v17, 0x7fffffff, v17
	v_sub_nc_u32_e32 v4, v4, v17
	s_delay_alu instid0(VALU_DEP_1)
	v_max_u32_e32 v17, 1, v4
	v_mov_b32_e32 v4, 0
.LBB27_112:                             ; =>This Inner Loop Header: Depth=1
	s_delay_alu instid0(VALU_DEP_2) | instskip(NEXT) | instid1(VALU_DEP_1)
	v_mul_hi_u32 v18, 0xbc8f1391, v17
	v_lshrrev_b32_e32 v18, 15, v18
	s_delay_alu instid0(VALU_DEP_1) | instskip(NEXT) | instid1(VALU_DEP_1)
	v_mul_u32_u24_e32 v19, 0xadc8, v18
	v_sub_nc_u32_e32 v17, v17, v19
	v_mul_u32_u24_e32 v18, 0xd47, v18
	s_delay_alu instid0(VALU_DEP_2) | instskip(NEXT) | instid1(VALU_DEP_2)
	v_mul_lo_u32 v17, 0xbc8f, v17
	v_xor_b32_e32 v19, 0x7fffffff, v18
	v_sub_nc_u32_e32 v20, 0, v18
	s_delay_alu instid0(VALU_DEP_3) | instskip(NEXT) | instid1(VALU_DEP_2)
	v_cmp_lt_u32_e32 vcc_lo, v17, v18
	v_cndmask_b32_e32 v18, v20, v19, vcc_lo
	s_delay_alu instid0(VALU_DEP_1) | instskip(NEXT) | instid1(VALU_DEP_1)
	v_add_nc_u32_e32 v17, v18, v17
	v_mul_hi_u32 v18, 0xbc8f1391, v17
	s_delay_alu instid0(VALU_DEP_1) | instskip(NEXT) | instid1(VALU_DEP_1)
	v_lshrrev_b32_e32 v18, 15, v18
	v_mul_u32_u24_e32 v19, 0xadc8, v18
	v_mul_u32_u24_e32 v18, 0xd47, v18
	s_delay_alu instid0(VALU_DEP_2) | instskip(NEXT) | instid1(VALU_DEP_2)
	v_sub_nc_u32_e32 v19, v17, v19
	v_xor_b32_e32 v20, 0x7fffffff, v18
	v_add_nc_u32_e32 v17, -1, v17
	s_delay_alu instid0(VALU_DEP_3) | instskip(SKIP_1) | instid1(VALU_DEP_2)
	v_mul_lo_u32 v19, 0xbc8f, v19
	v_sub_nc_u32_e32 v21, 0, v18
	v_cmp_lt_u32_e32 vcc_lo, v19, v18
	s_delay_alu instid0(VALU_DEP_2) | instskip(NEXT) | instid1(VALU_DEP_1)
	v_cndmask_b32_e32 v18, v21, v20, vcc_lo
	v_add_nc_u32_e32 v19, v18, v19
	s_delay_alu instid0(VALU_DEP_1) | instskip(NEXT) | instid1(VALU_DEP_1)
	v_mul_hi_u32 v18, 0xbc8f1391, v19
	v_lshrrev_b32_e32 v18, 15, v18
	s_delay_alu instid0(VALU_DEP_1) | instskip(SKIP_1) | instid1(VALU_DEP_2)
	v_mul_u32_u24_e32 v20, 0xadc8, v18
	v_mul_u32_u24_e32 v18, 0xd47, v18
	v_sub_nc_u32_e32 v20, v19, v20
	s_delay_alu instid0(VALU_DEP_2) | instskip(NEXT) | instid1(VALU_DEP_2)
	v_xor_b32_e32 v21, 0x7fffffff, v18
	v_mul_lo_u32 v20, 0xbc8f, v20
	v_sub_nc_u32_e32 v22, 0, v18
	s_delay_alu instid0(VALU_DEP_2) | instskip(NEXT) | instid1(VALU_DEP_2)
	v_cmp_lt_u32_e32 vcc_lo, v20, v18
	v_dual_cndmask_b32 v18, v22, v21, vcc_lo :: v_dual_add_f32 v22, 1.0, v4
	s_delay_alu instid0(VALU_DEP_1) | instskip(NEXT) | instid1(VALU_DEP_1)
	v_add_nc_u32_e32 v20, v18, v20
	v_mul_hi_u32 v18, 0xbc8f1391, v20
	s_delay_alu instid0(VALU_DEP_1) | instskip(NEXT) | instid1(VALU_DEP_1)
	v_lshrrev_b32_e32 v18, 15, v18
	v_mul_u32_u24_e32 v21, 0xadc8, v18
	v_mul_u32_u24_e32 v23, 0xd47, v18
	v_cvt_f32_u32_e32 v18, v17
	s_delay_alu instid0(VALU_DEP_3) | instskip(NEXT) | instid1(VALU_DEP_3)
	v_sub_nc_u32_e32 v21, v20, v21
	v_xor_b32_e32 v17, 0x7fffffff, v23
	v_dual_sub_nc_u32 v24, 0, v23 :: v_dual_add_nc_u32 v20, -1, v20
	s_delay_alu instid0(VALU_DEP_3) | instskip(NEXT) | instid1(VALU_DEP_2)
	v_mul_lo_u32 v21, 0xbc8f, v21
	v_cvt_f32_u32_e32 v20, v20
	s_delay_alu instid0(VALU_DEP_2) | instskip(NEXT) | instid1(VALU_DEP_4)
	v_cmp_lt_u32_e32 vcc_lo, v21, v23
	v_dual_add_nc_u32 v19, -1, v19 :: v_dual_cndmask_b32 v17, v24, v17, vcc_lo
	s_delay_alu instid0(VALU_DEP_1) | instskip(NEXT) | instid1(VALU_DEP_2)
	v_cvt_f32_u32_e32 v19, v19
	v_add_nc_u32_e32 v17, v17, v21
	s_delay_alu instid0(VALU_DEP_2) | instskip(NEXT) | instid1(VALU_DEP_1)
	v_pk_fma_f32 v[18:19], v[18:19], s[4:5], 0 op_sel_hi:[1,0,0]
	v_pk_mul_f32 v[18:19], v[18:19], v[18:19]
	s_delay_alu instid0(VALU_DEP_1) | instskip(NEXT) | instid1(VALU_DEP_1)
	v_dual_add_nc_u32 v21, -1, v17 :: v_dual_add_f32 v23, v18, v19
	v_cvt_f32_u32_e32 v21, v21
	s_delay_alu instid0(VALU_DEP_2) | instskip(NEXT) | instid1(VALU_DEP_2)
	v_cmp_gt_f32_e32 vcc_lo, 0xf800000, v23
	v_pk_fma_f32 v[18:19], v[20:21], s[4:5], 0 op_sel_hi:[1,0,0]
	s_add_co_i32 s5, s5, -2
	s_delay_alu instid0(SALU_CYCLE_1) | instskip(NEXT) | instid1(VALU_DEP_1)
	s_cmp_lg_u32 s5, 0
	v_pk_mul_f32 v[18:19], v[18:19], v[18:19]
	s_delay_alu instid0(VALU_DEP_1) | instskip(NEXT) | instid1(VALU_DEP_1)
	v_add_f32_e32 v18, v18, v19
	v_dual_mul_f32 v20, 0x4f800000, v23 :: v_dual_mul_f32 v21, 0x4f800000, v18
	s_delay_alu instid0(VALU_DEP_1) | instskip(SKIP_1) | instid1(VALU_DEP_2)
	v_cndmask_b32_e32 v20, v23, v20, vcc_lo
	v_cmp_gt_f32_e64 s2, 0xf800000, v18
	v_sqrt_f32_e32 v19, v20
	v_nop
	s_delay_alu instid0(TRANS32_DEP_1) | instskip(NEXT) | instid1(VALU_DEP_1)
	v_dual_add_nc_u32 v23, -1, v19 :: v_dual_cndmask_b32 v18, v18, v21, s2
	v_dual_add_nc_u32 v21, 1, v19 :: v_dual_fma_f32 v24, -v23, v19, v20
	s_delay_alu instid0(VALU_DEP_2) | instskip(NEXT) | instid1(VALU_DEP_1)
	v_sqrt_f32_e32 v25, v18
	v_fma_f32 v26, -v21, v19, v20
	s_delay_alu instid0(VALU_DEP_2)
	v_cmp_ge_f32_e64 s3, 0, v24
	s_delay_alu instid0(TRANS32_DEP_1) | instid1(VALU_DEP_1)
	v_dual_cndmask_b32 v19, v19, v23, s3 :: v_dual_add_nc_u32 v23, -1, v25
	s_delay_alu instid0(VALU_DEP_3) | instskip(NEXT) | instid1(VALU_DEP_1)
	v_cmp_lt_f32_e64 s3, 0, v26
	v_cndmask_b32_e64 v19, v19, v21, s3
	s_delay_alu instid0(VALU_DEP_3) | instskip(NEXT) | instid1(VALU_DEP_1)
	v_dual_add_nc_u32 v21, 1, v25 :: v_dual_fma_f32 v24, -v23, v25, v18
	v_fma_f32 v27, -v21, v25, v18
	s_delay_alu instid0(VALU_DEP_2) | instskip(NEXT) | instid1(VALU_DEP_1)
	v_cmp_ge_f32_e64 s3, 0, v24
	v_cndmask_b32_e64 v23, v25, v23, s3
	v_mul_f32_e32 v26, 0x37800000, v19
	s_delay_alu instid0(VALU_DEP_4) | instskip(NEXT) | instid1(VALU_DEP_1)
	v_cmp_lt_f32_e64 s3, 0, v27
	v_cndmask_b32_e64 v21, v23, v21, s3
	s_delay_alu instid0(VALU_DEP_3) | instskip(SKIP_1) | instid1(VALU_DEP_2)
	v_cndmask_b32_e32 v19, v19, v26, vcc_lo
	v_cmp_class_f32_e64 vcc_lo, v20, 0x260
	v_cndmask_b32_e32 v19, v19, v20, vcc_lo
	s_delay_alu instid0(VALU_DEP_1) | instskip(SKIP_3) | instid1(VALU_DEP_2)
	v_cmp_nge_f32_e32 vcc_lo, 1.0, v19
	v_cndmask_b32_e32 v4, v22, v4, vcc_lo
	v_mul_f32_e32 v20, 0x37800000, v21
	v_cmp_class_f32_e64 vcc_lo, v18, 0x260
	v_cndmask_b32_e64 v19, v21, v20, s2
	s_delay_alu instid0(VALU_DEP_1) | instskip(NEXT) | instid1(VALU_DEP_1)
	v_dual_add_f32 v20, 1.0, v4 :: v_dual_cndmask_b32 v18, v19, v18, vcc_lo
	v_cmp_nge_f32_e32 vcc_lo, 1.0, v18
	s_delay_alu instid0(VALU_DEP_2)
	v_cndmask_b32_e32 v4, v20, v4, vcc_lo
	s_cbranch_scc1 .LBB27_112
; %bb.113:
	v_dual_mul_f32 v11, 4.0, v11 :: v_dual_mul_f32 v9, 4.0, v9
	v_dual_mul_f32 v8, 4.0, v8 :: v_dual_mul_f32 v7, 4.0, v7
	;; [unrolled: 1-line block ×3, first 2 shown]
	s_delay_alu instid0(VALU_DEP_3) | instskip(NEXT) | instid1(VALU_DEP_4)
	v_div_scale_f32 v17, null, 0x461c4000, 0x461c4000, v11
	v_div_scale_f32 v19, null, 0x461c4000, 0x461c4000, v9
	s_delay_alu instid0(VALU_DEP_4) | instskip(NEXT) | instid1(VALU_DEP_3)
	v_div_scale_f32 v21, null, 0x461c4000, 0x461c4000, v8
	v_rcp_f32_e32 v18, v17
	s_delay_alu instid0(VALU_DEP_2) | instskip(SKIP_1) | instid1(VALU_DEP_2)
	v_rcp_f32_e32 v22, v19
	v_div_scale_f32 v20, vcc_lo, v11, 0x461c4000, v11
	v_rcp_f32_e32 v25, v21
	v_div_scale_f32 v26, s3, v8, 0x461c4000, v8
	s_delay_alu instid0(TRANS32_DEP_3) | instskip(SKIP_2) | instid1(VALU_DEP_3)
	v_fma_f32 v23, -v17, v18, 1.0
	v_div_scale_f32 v24, s2, v9, 0x461c4000, v9
	v_div_scale_f32 v27, null, 0x461c4000, 0x461c4000, v7
	v_fmac_f32_e32 v18, v23, v18
	v_fma_f32 v23, -v19, v22, 1.0
	v_fma_f32 v28, -v21, v25, 1.0
	s_delay_alu instid0(VALU_DEP_4) | instskip(SKIP_1) | instid1(VALU_DEP_2)
	v_rcp_f32_e32 v30, v27
	v_div_scale_f32 v32, s4, v7, 0x461c4000, v7
	v_dual_fmac_f32 v22, v23, v22 :: v_dual_fmac_f32 v25, v28, v25
	v_mul_f32_e32 v29, v20, v18
	v_div_scale_f32 v23, null, 0x461c4000, 0x461c4000, v6
	s_delay_alu instid0(TRANS32_DEP_1) | instskip(SKIP_1) | instid1(VALU_DEP_4)
	v_fma_f32 v35, -v27, v30, 1.0
	v_dual_mul_f32 v1, 4.0, v1 :: v_dual_mul_f32 v10, 4.0, v10
	v_fma_f32 v31, -v17, v29, v20
	s_delay_alu instid0(VALU_DEP_4) | instskip(SKIP_1) | instid1(VALU_DEP_2)
	v_rcp_f32_e32 v34, v23
	v_dual_mul_f32 v3, 4.0, v3 :: v_dual_mul_f32 v2, 4.0, v2
	v_dual_mul_f32 v12, 4.0, v12 :: v_dual_fmac_f32 v29, v31, v18
	v_dual_mul_f32 v28, v24, v22 :: v_dual_mul_f32 v31, v26, v25
	v_dual_mul_f32 v14, 4.0, v14 :: v_dual_mul_f32 v15, 4.0, v15
	s_delay_alu instid0(VALU_DEP_3) | instskip(NEXT) | instid1(VALU_DEP_3)
	v_dual_fma_f32 v17, -v17, v29, v20 :: v_dual_mul_f32 v4, 4.0, v4
	v_dual_fma_f32 v20, -v21, v31, v26 :: v_dual_fma_f32 v33, -v19, v28, v24
	s_delay_alu instid0(VALU_DEP_2) | instskip(SKIP_1) | instid1(VALU_DEP_2)
	v_div_fmas_f32 v17, v17, v18, v29
	s_mov_b32 vcc_lo, s2
	v_dual_fmac_f32 v31, v20, v25 :: v_dual_fmac_f32 v28, v33, v22
	v_fma_f32 v18, -v23, v34, 1.0
	s_delay_alu instid0(VALU_DEP_3) | instskip(SKIP_1) | instid1(VALU_DEP_4)
	v_div_fixup_f32 v11, v17, 0x461c4000, v11
	v_div_scale_f32 v17, null, 0x461c4000, 0x461c4000, v5
	v_fma_f32 v19, -v19, v28, v24
	v_div_scale_f32 v29, null, 0x461c4000, 0x461c4000, v3
	s_delay_alu instid0(VALU_DEP_3) | instskip(NEXT) | instid1(VALU_DEP_2)
	v_rcp_f32_e32 v24, v17
	v_div_fmas_f32 v19, v19, v22, v28
	s_mov_b32 vcc_lo, s3
	s_delay_alu instid0(TRANS32_DEP_1) | instskip(SKIP_1) | instid1(VALU_DEP_3)
	v_fma_f32 v28, -v17, v24, 1.0
	v_fmac_f32_e32 v30, v35, v30
	v_div_fixup_f32 v9, v19, 0x461c4000, v9
	s_delay_alu instid0(VALU_DEP_3) | instskip(NEXT) | instid1(VALU_DEP_3)
	v_fmac_f32_e32 v24, v28, v24
	v_mul_f32_e32 v20, v32, v30
	v_fmac_f32_e32 v34, v18, v34
	v_div_scale_f32 v18, s5, v6, 0x461c4000, v6
	v_div_scale_f32 v28, s2, v5, 0x461c4000, v5
	s_delay_alu instid0(VALU_DEP_4) | instskip(NEXT) | instid1(VALU_DEP_3)
	v_dual_fma_f32 v22, -v27, v20, v32 :: v_dual_fma_f32 v21, -v21, v31, v26
	v_mul_f32_e32 v26, v18, v34
	s_delay_alu instid0(VALU_DEP_2) | instskip(NEXT) | instid1(VALU_DEP_3)
	v_fmac_f32_e32 v20, v22, v30
	v_div_fmas_f32 v21, v21, v25, v31
	s_delay_alu instid0(VALU_DEP_3) | instskip(SKIP_2) | instid1(VALU_DEP_2)
	v_fma_f32 v22, -v23, v26, v18
	v_rcp_f32_e32 v25, v29
	s_mov_b32 vcc_lo, s4
	v_div_fixup_f32 v8, v21, 0x461c4000, v8
	v_mul_f32_e32 v21, v28, v24
	v_dual_fma_f32 v19, -v27, v20, v32 :: v_dual_fmac_f32 v26, v22, v34
	s_delay_alu instid0(TRANS32_DEP_1) | instskip(SKIP_1) | instid1(VALU_DEP_3)
	v_fma_f32 v22, -v29, v25, 1.0
	v_div_scale_f32 v27, null, 0x461c4000, 0x461c4000, v1
	v_div_fmas_f32 v19, v19, v30, v20
	s_delay_alu instid0(VALU_DEP_4)
	v_dual_fma_f32 v20, -v17, v21, v28 :: v_dual_fma_f32 v18, -v23, v26, v18
	v_div_scale_f32 v23, null, 0x461c4000, 0x461c4000, v2
	v_fmac_f32_e32 v25, v22, v25
	v_div_scale_f32 v22, s3, v3, 0x461c4000, v3
	s_mov_b32 vcc_lo, s5
	v_fmac_f32_e32 v21, v20, v24
	v_rcp_f32_e32 v20, v23
	v_div_fmas_f32 v18, v18, v34, v26
	v_mul_f32_e32 v26, v22, v25
	v_div_fixup_f32 v7, v19, 0x461c4000, v7
	s_mov_b32 vcc_lo, s2
	v_div_scale_f32 v35, s5, v12, 0x461c4000, v12
	v_div_fixup_f32 v6, v18, 0x461c4000, v6
	v_fma_f32 v18, -v29, v26, v22
	v_fma_f32 v19, -v23, v20, 1.0
	s_delay_alu instid0(VALU_DEP_1) | instskip(SKIP_3) | instid1(VALU_DEP_3)
	v_dual_fmac_f32 v26, v18, v25 :: v_dual_fmac_f32 v20, v19, v20
	v_div_scale_f32 v19, s2, v2, 0x461c4000, v2
	v_fma_f32 v17, -v17, v21, v28
	v_rcp_f32_e32 v18, v27
	v_fma_f32 v22, -v29, v26, v22
	v_div_scale_f32 v29, null, 0x461c4000, 0x461c4000, v12
	s_delay_alu instid0(VALU_DEP_3) | instskip(SKIP_3) | instid1(VALU_DEP_3)
	v_div_fmas_f32 v17, v17, v24, v21
	v_div_scale_f32 v21, null, 0x461c4000, 0x461c4000, v10
	v_mul_f32_e32 v24, v19, v20
	s_mov_b32 vcc_lo, s3
	v_div_fixup_f32 v5, v17, 0x461c4000, v5
	s_delay_alu instid0(VALU_DEP_3) | instskip(SKIP_4) | instid1(VALU_DEP_3)
	v_rcp_f32_e32 v28, v21
	v_fma_f32 v17, -v27, v18, 1.0
	v_div_fmas_f32 v22, v22, v25, v26
	v_rcp_f32_e32 v25, v29
	v_dual_fma_f32 v26, -v23, v24, v19 :: v_dual_mul_f32 v13, 4.0, v13
	v_fmac_f32_e32 v18, v17, v18
	v_div_scale_f32 v17, s4, v1, 0x461c4000, v1
	v_fma_f32 v30, -v21, v28, 1.0
	s_delay_alu instid0(TRANS32_DEP_1) | instskip(NEXT) | instid1(VALU_DEP_3)
	v_fma_f32 v32, -v29, v25, 1.0
	v_dual_fmac_f32 v24, v26, v20 :: v_dual_mul_f32 v31, v17, v18
	v_div_scale_f32 v33, null, 0x461c4000, 0x461c4000, v13
	s_delay_alu instid0(VALU_DEP_4) | instskip(SKIP_1) | instid1(VALU_DEP_4)
	v_fmac_f32_e32 v28, v30, v28
	v_div_scale_f32 v30, s3, v10, 0x461c4000, v10
	v_fma_f32 v26, -v27, v31, v17
	v_dual_fmac_f32 v25, v32, v25 :: v_dual_fma_f32 v19, -v23, v24, v19
	s_delay_alu instid0(VALU_DEP_3) | instskip(SKIP_2) | instid1(VALU_DEP_3)
	v_mul_f32_e32 v34, v30, v28
	v_rcp_f32_e32 v32, v33
	v_div_fixup_f32 v3, v22, 0x461c4000, v3
	v_dual_fmac_f32 v31, v26, v18 :: v_dual_mul_f32 v23, v35, v25
	s_delay_alu instid0(VALU_DEP_3) | instskip(SKIP_1) | instid1(TRANS32_DEP_1)
	v_fma_f32 v22, -v21, v34, v30
	s_mov_b32 vcc_lo, s2
	v_fma_f32 v26, -v33, v32, 1.0
	v_div_fmas_f32 v19, v19, v20, v24
	s_delay_alu instid0(VALU_DEP_3) | instskip(NEXT) | instid1(VALU_DEP_3)
	v_dual_fma_f32 v17, -v27, v31, v17 :: v_dual_fmac_f32 v34, v22, v28
	v_dual_fma_f32 v20, -v29, v23, v35 :: v_dual_fmac_f32 v32, v26, v32
	v_div_scale_f32 v22, s2, v13, 0x461c4000, v13
	s_mov_b32 vcc_lo, s4
	v_fmac_f32_e32 v23, v20, v25
	v_div_fmas_f32 v17, v17, v18, v31
	v_dual_fma_f32 v18, -v21, v34, v30 :: v_dual_mul_f32 v20, v22, v32
	v_div_scale_f32 v24, null, 0x461c4000, 0x461c4000, v14
	s_delay_alu instid0(VALU_DEP_4) | instskip(SKIP_1) | instid1(VALU_DEP_3)
	v_fma_f32 v21, -v29, v23, v35
	s_mov_b32 vcc_lo, s3
	v_fma_f32 v26, -v33, v20, v22
	v_div_fmas_f32 v18, v18, v28, v34
	s_mov_b32 vcc_lo, s5
	v_div_fixup_f32 v2, v19, 0x461c4000, v2
	v_div_fmas_f32 v21, v21, v25, v23
	v_rcp_f32_e32 v23, v24
	v_fmac_f32_e32 v20, v26, v32
	v_div_fixup_f32 v1, v17, 0x461c4000, v1
	v_div_fixup_f32 v10, v18, 0x461c4000, v10
	s_mov_b32 vcc_lo, s2
	v_div_scale_f32 v19, null, 0x461c4000, 0x461c4000, v15
	v_fma_f32 v17, -v33, v20, v22
	v_fma_f32 v18, -v24, v23, 1.0
	v_dual_add_f32 v1, v1, v2 :: v_dual_mul_f32 v16, 4.0, v16
	v_div_fixup_f32 v12, v21, 0x461c4000, v12
	s_delay_alu instid0(VALU_DEP_4) | instskip(NEXT) | instid1(VALU_DEP_4)
	v_div_fmas_f32 v17, v17, v32, v20
	v_fmac_f32_e32 v23, v18, v23
	v_div_scale_f32 v2, vcc_lo, v14, 0x461c4000, v14
	v_add_f32_e32 v1, v1, v3
	s_delay_alu instid0(VALU_DEP_4) | instskip(SKIP_1) | instid1(VALU_DEP_3)
	v_div_fixup_f32 v13, v17, 0x461c4000, v13
	v_div_scale_f32 v17, null, 0x461c4000, 0x461c4000, v16
	v_dual_mul_f32 v3, v2, v23 :: v_dual_add_f32 v1, v1, v5
	v_rcp_f32_e32 v18, v19
	s_delay_alu instid0(VALU_DEP_2) | instskip(NEXT) | instid1(VALU_DEP_1)
	v_rcp_f32_e32 v21, v17
	v_fma_f32 v5, -v24, v3, v2
	s_delay_alu instid0(TRANS32_DEP_2) | instskip(NEXT) | instid1(TRANS32_DEP_1)
	v_fma_f32 v20, -v19, v18, 1.0
	v_fma_f32 v22, -v17, v21, 1.0
	v_add_f32_e32 v1, v1, v6
	v_div_scale_f32 v6, null, 0x461c4000, 0x461c4000, v4
	s_delay_alu instid0(VALU_DEP_3) | instskip(NEXT) | instid1(VALU_DEP_3)
	v_dual_fmac_f32 v21, v22, v21 :: v_dual_fmac_f32 v18, v20, v18
	v_add_f32_e32 v1, v1, v7
	s_delay_alu instid0(VALU_DEP_3) | instskip(SKIP_1) | instid1(VALU_DEP_1)
	v_rcp_f32_e32 v7, v6
	v_div_scale_f32 v20, s2, v15, 0x461c4000, v15
	v_dual_fmac_f32 v3, v5, v23 :: v_dual_mul_f32 v5, v20, v18
	s_delay_alu instid0(VALU_DEP_1) | instskip(NEXT) | instid1(TRANS32_DEP_1)
	v_dual_add_f32 v1, v1, v8 :: v_dual_fma_f32 v2, -v24, v3, v2
	v_fma_f32 v22, -v6, v7, 1.0
	v_div_scale_f32 v8, s3, v16, 0x461c4000, v16
	s_delay_alu instid0(VALU_DEP_4) | instskip(NEXT) | instid1(VALU_DEP_4)
	v_fma_f32 v24, -v19, v5, v20
	v_div_fmas_f32 v2, v2, v23, v3
	s_delay_alu instid0(VALU_DEP_4) | instskip(SKIP_1) | instid1(VALU_DEP_4)
	v_dual_fmac_f32 v7, v22, v7 :: v_dual_add_f32 v1, v1, v9
	v_div_scale_f32 v22, s4, v4, 0x461c4000, v4
	v_fmac_f32_e32 v5, v24, v18
	s_delay_alu instid0(VALU_DEP_3) | instskip(NEXT) | instid1(VALU_DEP_3)
	v_dual_mul_f32 v9, v8, v21 :: v_dual_add_f32 v1, v1, v11
	v_mul_f32_e32 v11, v22, v7
	s_mov_b32 vcc_lo, s2
	v_div_fixup_f32 v2, v2, 0x461c4000, v14
	s_delay_alu instid0(VALU_DEP_3) | instskip(SKIP_2) | instid1(VALU_DEP_2)
	v_fma_f32 v3, -v17, v9, v8
	v_dual_add_f32 v1, v1, v10 :: v_dual_fma_f32 v10, -v19, v5, v20
	s_mov_b32 s2, exec_lo
	v_dual_fmac_f32 v9, v3, v21 :: v_dual_fma_f32 v3, -v6, v11, v22
	s_delay_alu instid0(VALU_DEP_2) | instskip(NEXT) | instid1(VALU_DEP_3)
	v_add_f32_e32 v1, v1, v12
	v_div_fmas_f32 v5, v10, v18, v5
	s_mov_b32 vcc_lo, s3
	s_delay_alu instid0(VALU_DEP_3) | instskip(NEXT) | instid1(VALU_DEP_3)
	v_dual_fmac_f32 v11, v3, v7 :: v_dual_fma_f32 v8, -v17, v9, v8
	v_add_f32_e32 v1, v1, v13
	s_delay_alu instid0(VALU_DEP_3) | instskip(NEXT) | instid1(VALU_DEP_3)
	v_div_fixup_f32 v5, v5, 0x461c4000, v15
	v_fma_f32 v6, -v6, v11, v22
	s_delay_alu instid0(VALU_DEP_4) | instskip(NEXT) | instid1(VALU_DEP_4)
	v_div_fmas_f32 v3, v8, v21, v9
	v_add_f32_e32 v1, v1, v2
	s_mov_b32 vcc_lo, s4
	s_delay_alu instid0(VALU_DEP_2) | instskip(SKIP_1) | instid1(VALU_DEP_3)
	v_div_fixup_f32 v2, v3, 0x461c4000, v16
	v_div_fmas_f32 v3, v6, v7, v11
	v_add_f32_e32 v1, v1, v5
	s_delay_alu instid0(VALU_DEP_2) | instskip(NEXT) | instid1(VALU_DEP_2)
	v_div_fixup_f32 v3, v3, 0x461c4000, v4
	v_add_f32_e32 v1, v1, v2
	s_delay_alu instid0(VALU_DEP_1) | instskip(NEXT) | instid1(VALU_DEP_1)
	v_add_f32_e32 v1, v1, v3
	v_mov_b32_dpp v2, v1 quad_perm:[1,0,3,2] row_mask:0xf bank_mask:0xf
	s_delay_alu instid0(VALU_DEP_1) | instskip(NEXT) | instid1(VALU_DEP_1)
	v_add_f32_e32 v1, v1, v2
	v_mov_b32_dpp v2, v1 quad_perm:[2,3,0,1] row_mask:0xf bank_mask:0xf
	s_delay_alu instid0(VALU_DEP_1) | instskip(NEXT) | instid1(VALU_DEP_1)
	v_add_f32_e32 v1, v1, v2
	v_mov_b32_dpp v2, v1 row_ror:4 row_mask:0xf bank_mask:0xf
	s_delay_alu instid0(VALU_DEP_1) | instskip(NEXT) | instid1(VALU_DEP_1)
	v_add_f32_e32 v1, v1, v2
	v_mov_b32_dpp v2, v1 row_ror:8 row_mask:0xf bank_mask:0xf
	s_delay_alu instid0(VALU_DEP_1)
	v_add_f32_e32 v1, v1, v2
	ds_swizzle_b32 v2, v1 offset:swizzle(BROADCAST,32,15)
	s_wait_dscnt 0x0
	v_dual_add_f32 v1, v1, v2 :: v_dual_mov_b32 v2, 0
	ds_bpermute_b32 v1, v2, v1 offset:124
	v_mbcnt_lo_u32_b32 v2, -1, 0
	s_delay_alu instid0(VALU_DEP_1)
	v_cmpx_eq_u32_e32 0, v2
	s_cbranch_execz .LBB27_115
; %bb.114:
	v_lshrrev_b32_e32 v3, 3, v0
	s_delay_alu instid0(VALU_DEP_1)
	v_and_b32_e32 v3, 28, v3
	s_wait_dscnt 0x0
	ds_store_b32 v3, v1
.LBB27_115:
	s_or_b32 exec_lo, exec_lo, s2
	s_delay_alu instid0(SALU_CYCLE_1)
	s_mov_b32 s2, exec_lo
	s_wait_dscnt 0x0
	s_barrier_signal -1
	s_barrier_wait -1
	v_cmpx_gt_u32_e32 32, v0
	s_cbranch_execz .LBB27_117
; %bb.116:
	v_and_b32_e32 v1, 7, v2
	s_delay_alu instid0(VALU_DEP_1) | instskip(SKIP_1) | instid1(VALU_DEP_1)
	v_cmp_ne_u32_e32 vcc_lo, 7, v1
	v_add_co_ci_u32_e64 v4, null, 0, v2, vcc_lo
	v_lshlrev_b32_e32 v4, 2, v4
	v_cmp_gt_u32_e32 vcc_lo, 6, v1
	v_lshlrev_b32_e32 v3, 2, v1
	v_cndmask_b32_e64 v1, 0, 2, vcc_lo
	s_delay_alu instid0(VALU_DEP_1)
	v_add_lshl_u32 v1, v1, v2, 2
	v_lshlrev_b32_e32 v2, 2, v2
	ds_load_b32 v3, v3
	v_or_b32_e32 v2, 16, v2
	s_wait_dscnt 0x0
	ds_bpermute_b32 v4, v4, v3
	s_wait_dscnt 0x0
	v_add_f32_e32 v3, v3, v4
	ds_bpermute_b32 v1, v1, v3
	s_wait_dscnt 0x0
	v_add_f32_e32 v1, v3, v1
	;; [unrolled: 3-line block ×3, first 2 shown]
.LBB27_117:
	s_or_b32 exec_lo, exec_lo, s2
	s_mov_b32 s2, 0
	s_branch .LBB27_255
.LBB27_118:
                                        ; implicit-def: $vgpr1
                                        ; implicit-def: $sgpr40_sgpr41
	s_branch .LBB27_350
.LBB27_119:
                                        ; implicit-def: $vgpr1
	s_cbranch_execz .LBB27_74
; %bb.120:
	v_mov_b32_e32 v2, 0
	s_sub_co_i32 s46, s36, s6
	s_delay_alu instid0(SALU_CYCLE_1) | instskip(NEXT) | instid1(VALU_DEP_2)
	v_cmp_gt_u32_e32 vcc_lo, s46, v0
	v_dual_mov_b32 v1, v2 :: v_dual_mov_b32 v4, v2
	v_dual_mov_b32 v3, v2 :: v_dual_mov_b32 v6, v2
	v_dual_mov_b32 v5, v2 :: v_dual_mov_b32 v8, v2
	v_dual_mov_b32 v7, v2 :: v_dual_mov_b32 v10, v2
	v_dual_mov_b32 v9, v2 :: v_dual_mov_b32 v12, v2
	v_dual_mov_b32 v11, v2 :: v_dual_mov_b32 v14, v2
	v_dual_mov_b32 v13, v2 :: v_dual_mov_b32 v16, v2
	v_dual_mov_b32 v15, v2 :: v_dual_mov_b32 v18, v2
	v_dual_mov_b32 v17, v2 :: v_dual_mov_b32 v20, v2
	v_dual_mov_b32 v19, v2 :: v_dual_mov_b32 v22, v2
	v_dual_mov_b32 v21, v2 :: v_dual_mov_b32 v24, v2
	v_dual_mov_b32 v23, v2 :: v_dual_mov_b32 v26, v2
	v_dual_mov_b32 v25, v2 :: v_dual_mov_b32 v28, v2
	v_dual_mov_b32 v27, v2 :: v_dual_mov_b32 v30, v2
	v_dual_mov_b32 v29, v2 :: v_dual_mov_b32 v32, v2
	v_mov_b32_e32 v31, v2
	s_and_saveexec_b32 s5, vcc_lo
	s_cbranch_execz .LBB27_124
; %bb.121:
	v_add_nc_u32_e32 v1, s35, v0
	s_movk_i32 s6, 0x2710
	s_brev_b32 s4, 12
	s_delay_alu instid0(VALU_DEP_1) | instskip(NEXT) | instid1(VALU_DEP_1)
	v_lshlrev_b32_e32 v3, 12, v1
	v_add3_u32 v1, v1, v3, 0x7ed55d16
	s_delay_alu instid0(VALU_DEP_1) | instskip(NEXT) | instid1(VALU_DEP_1)
	v_lshrrev_b32_e32 v3, 19, v1
	v_xor3_b32 v1, v1, v3, 0xc761c23c
	s_delay_alu instid0(VALU_DEP_1) | instskip(NEXT) | instid1(VALU_DEP_1)
	v_lshl_add_u32 v1, v1, 5, v1
	v_add_nc_u32_e32 v3, 0xe9f8cc1d, v1
	v_lshl_add_u32 v1, v1, 9, 0xaccf6200
	s_delay_alu instid0(VALU_DEP_1) | instskip(NEXT) | instid1(VALU_DEP_1)
	v_xor_b32_e32 v1, v3, v1
	v_lshlrev_b32_e32 v3, 3, v1
	s_delay_alu instid0(VALU_DEP_1) | instskip(NEXT) | instid1(VALU_DEP_1)
	v_add3_u32 v1, v1, v3, 0xfd7046c5
	v_lshrrev_b32_e32 v3, 16, v1
	s_delay_alu instid0(VALU_DEP_1) | instskip(NEXT) | instid1(VALU_DEP_1)
	v_xor3_b32 v1, v1, v3, 0xb55a4f09
	v_mul_hi_u32 v3, v1, 3
	s_delay_alu instid0(VALU_DEP_1) | instskip(NEXT) | instid1(VALU_DEP_1)
	v_sub_nc_u32_e32 v4, v1, v3
	v_lshrrev_b32_e32 v4, 1, v4
	s_delay_alu instid0(VALU_DEP_1) | instskip(NEXT) | instid1(VALU_DEP_1)
	v_add_nc_u32_e32 v3, v4, v3
	v_lshrrev_b32_e32 v3, 30, v3
	s_delay_alu instid0(VALU_DEP_1) | instskip(NEXT) | instid1(VALU_DEP_1)
	v_mul_lo_u32 v3, 0x7fffffff, v3
	v_sub_nc_u32_e32 v1, v1, v3
	s_delay_alu instid0(VALU_DEP_1)
	v_max_u32_e32 v1, 1, v1
.LBB27_122:                             ; =>This Inner Loop Header: Depth=1
	s_delay_alu instid0(VALU_DEP_1) | instskip(SKIP_1) | instid1(VALU_DEP_2)
	v_mul_hi_u32 v3, 0xbc8f1391, v1
	s_add_co_i32 s6, s6, -2
	v_add_f32_e32 v8, 1.0, v2
	s_cmp_lg_u32 s6, 0
	s_delay_alu instid0(VALU_DEP_2) | instskip(NEXT) | instid1(VALU_DEP_1)
	v_lshrrev_b32_e32 v3, 15, v3
	v_mul_u32_u24_e32 v4, 0xadc8, v3
	s_delay_alu instid0(VALU_DEP_1) | instskip(SKIP_1) | instid1(VALU_DEP_2)
	v_sub_nc_u32_e32 v1, v1, v4
	v_mul_u32_u24_e32 v3, 0xd47, v3
	v_mul_lo_u32 v1, 0xbc8f, v1
	s_delay_alu instid0(VALU_DEP_2) | instskip(SKIP_1) | instid1(VALU_DEP_3)
	v_xor_b32_e32 v4, 0x7fffffff, v3
	v_sub_nc_u32_e32 v5, 0, v3
	v_cmp_lt_u32_e32 vcc_lo, v1, v3
	s_delay_alu instid0(VALU_DEP_2) | instskip(NEXT) | instid1(VALU_DEP_1)
	v_cndmask_b32_e32 v3, v5, v4, vcc_lo
	v_add_nc_u32_e32 v1, v3, v1
	s_delay_alu instid0(VALU_DEP_1) | instskip(NEXT) | instid1(VALU_DEP_1)
	v_mul_hi_u32 v3, 0xbc8f1391, v1
	v_lshrrev_b32_e32 v3, 15, v3
	s_delay_alu instid0(VALU_DEP_1) | instskip(NEXT) | instid1(VALU_DEP_1)
	v_mul_u32_u24_e32 v4, 0xadc8, v3
	v_sub_nc_u32_e32 v4, v1, v4
	v_mul_u32_u24_e32 v3, 0xd47, v3
	s_delay_alu instid0(VALU_DEP_2) | instskip(NEXT) | instid1(VALU_DEP_2)
	v_mul_lo_u32 v4, 0xbc8f, v4
	v_xor_b32_e32 v5, 0x7fffffff, v3
	v_sub_nc_u32_e32 v6, 0, v3
	s_delay_alu instid0(VALU_DEP_3) | instskip(NEXT) | instid1(VALU_DEP_2)
	v_cmp_lt_u32_e32 vcc_lo, v4, v3
	v_cndmask_b32_e32 v3, v6, v5, vcc_lo
	s_delay_alu instid0(VALU_DEP_1) | instskip(NEXT) | instid1(VALU_DEP_1)
	v_dual_add_nc_u32 v3, v3, v4 :: v_dual_add_nc_u32 v1, -1, v1
	v_mul_hi_u32 v4, 0xbc8f1391, v3
	s_delay_alu instid0(VALU_DEP_1) | instskip(NEXT) | instid1(VALU_DEP_1)
	v_lshrrev_b32_e32 v4, 15, v4
	v_mul_u32_u24_e32 v5, 0xadc8, v4
	v_mul_u32_u24_e32 v4, 0xd47, v4
	s_delay_alu instid0(VALU_DEP_2) | instskip(NEXT) | instid1(VALU_DEP_2)
	v_sub_nc_u32_e32 v5, v3, v5
	v_xor_b32_e32 v6, 0x7fffffff, v4
	v_dual_sub_nc_u32 v7, 0, v4 :: v_dual_add_nc_u32 v3, -1, v3
	s_delay_alu instid0(VALU_DEP_3) | instskip(NEXT) | instid1(VALU_DEP_1)
	v_mul_lo_u32 v5, 0xbc8f, v5
	v_cmp_lt_u32_e32 vcc_lo, v5, v4
	s_delay_alu instid0(VALU_DEP_3) | instskip(NEXT) | instid1(VALU_DEP_1)
	v_cndmask_b32_e32 v4, v7, v6, vcc_lo
	v_add_nc_u32_e32 v6, v4, v5
	s_delay_alu instid0(VALU_DEP_1) | instskip(NEXT) | instid1(VALU_DEP_1)
	v_mul_hi_u32 v4, 0xbc8f1391, v6
	v_lshrrev_b32_e32 v4, 15, v4
	s_delay_alu instid0(VALU_DEP_1) | instskip(NEXT) | instid1(VALU_DEP_1)
	v_mul_u32_u24_e32 v5, 0xadc8, v4
	v_sub_nc_u32_e32 v5, v6, v5
	s_delay_alu instid0(VALU_DEP_1) | instskip(SKIP_2) | instid1(VALU_DEP_2)
	v_mul_lo_u32 v7, 0xbc8f, v5
	v_mul_u32_u24_e32 v5, 0xd47, v4
	v_cvt_f32_u32_e32 v4, v1
	v_xor_b32_e32 v1, 0x7fffffff, v5
	v_sub_nc_u32_e32 v9, 0, v5
	v_cmp_lt_u32_e32 vcc_lo, v7, v5
	v_cvt_f32_u32_e32 v5, v3
	s_delay_alu instid0(VALU_DEP_3) | instskip(NEXT) | instid1(VALU_DEP_2)
	v_dual_add_nc_u32 v3, -1, v6 :: v_dual_cndmask_b32 v1, v9, v1, vcc_lo
	v_pk_fma_f32 v[4:5], v[4:5], s[4:5], 0 op_sel_hi:[1,0,0]
	s_delay_alu instid0(VALU_DEP_2) | instskip(NEXT) | instid1(VALU_DEP_3)
	v_cvt_f32_u32_e32 v6, v3
	v_add_nc_u32_e32 v1, v1, v7
	s_delay_alu instid0(VALU_DEP_3) | instskip(NEXT) | instid1(VALU_DEP_1)
	v_pk_mul_f32 v[4:5], v[4:5], v[4:5]
	v_add_f32_e32 v3, v4, v5
	s_delay_alu instid0(VALU_DEP_3) | instskip(NEXT) | instid1(VALU_DEP_1)
	v_add_nc_u32_e32 v7, -1, v1
	v_cvt_f32_u32_e32 v7, v7
	s_delay_alu instid0(VALU_DEP_1) | instskip(NEXT) | instid1(VALU_DEP_1)
	v_pk_fma_f32 v[4:5], v[6:7], s[4:5], 0 op_sel_hi:[1,0,0]
	v_pk_mul_f32 v[4:5], v[4:5], v[4:5]
	s_delay_alu instid0(VALU_DEP_1) | instskip(SKIP_2) | instid1(VALU_DEP_3)
	v_add_f32_e32 v4, v4, v5
	v_mul_f32_e32 v6, 0x4f800000, v3
	v_cmp_gt_f32_e32 vcc_lo, 0xf800000, v3
	v_cmp_gt_f32_e64 s2, 0xf800000, v4
	s_delay_alu instid0(VALU_DEP_3) | instskip(NEXT) | instid1(VALU_DEP_1)
	v_dual_cndmask_b32 v3, v3, v6 :: v_dual_mul_f32 v6, 0x4f800000, v4
	v_sqrt_f32_e32 v5, v3
	s_delay_alu instid0(VALU_DEP_1) | instskip(NEXT) | instid1(VALU_DEP_1)
	v_cndmask_b32_e64 v4, v4, v6, s2
	v_sqrt_f32_e32 v10, v4
	s_delay_alu instid0(TRANS32_DEP_2) | instskip(NEXT) | instid1(VALU_DEP_1)
	v_dual_add_nc_u32 v7, -1, v5 :: v_dual_add_nc_u32 v6, 1, v5
	v_fma_f32 v9, -v7, v5, v3
	s_delay_alu instid0(VALU_DEP_1) | instskip(NEXT) | instid1(VALU_DEP_1)
	v_cmp_ge_f32_e64 s3, 0, v9
	v_dual_fma_f32 v11, -v6, v5, v3 :: v_dual_cndmask_b32 v5, v5, v7, s3
	s_delay_alu instid0(VALU_DEP_1) | instskip(NEXT) | instid1(TRANS32_DEP_1)
	v_cmp_lt_f32_e64 s3, 0, v11
	v_add_nc_u32_e32 v7, -1, v10
	s_delay_alu instid0(VALU_DEP_2) | instskip(NEXT) | instid1(VALU_DEP_2)
	v_cndmask_b32_e64 v5, v5, v6, s3
	v_dual_add_nc_u32 v6, 1, v10 :: v_dual_fma_f32 v9, -v7, v10, v4
	s_delay_alu instid0(VALU_DEP_1) | instskip(NEXT) | instid1(VALU_DEP_2)
	v_fma_f32 v12, -v6, v10, v4
	v_cmp_ge_f32_e64 s3, 0, v9
	s_delay_alu instid0(VALU_DEP_1) | instskip(SKIP_1) | instid1(VALU_DEP_4)
	v_cndmask_b32_e64 v7, v10, v7, s3
	v_mul_f32_e32 v11, 0x37800000, v5
	v_cmp_lt_f32_e64 s3, 0, v12
	s_delay_alu instid0(VALU_DEP_1) | instskip(SKIP_1) | instid1(VALU_DEP_2)
	v_dual_cndmask_b32 v5, v5, v11, vcc_lo :: v_dual_cndmask_b32 v6, v7, v6, s3
	v_cmp_class_f32_e64 vcc_lo, v3, 0x260
	v_cndmask_b32_e32 v3, v5, v3, vcc_lo
	s_delay_alu instid0(VALU_DEP_3) | instskip(NEXT) | instid1(VALU_DEP_2)
	v_mul_f32_e32 v5, 0x37800000, v6
	v_cmp_nge_f32_e32 vcc_lo, 1.0, v3
	s_delay_alu instid0(VALU_DEP_2) | instskip(SKIP_1) | instid1(VALU_DEP_1)
	v_dual_cndmask_b32 v2, v8, v2, vcc_lo :: v_dual_cndmask_b32 v3, v6, v5, s2
	v_cmp_class_f32_e64 vcc_lo, v4, 0x260
	v_dual_add_f32 v5, 1.0, v2 :: v_dual_cndmask_b32 v3, v3, v4, vcc_lo
	s_delay_alu instid0(VALU_DEP_1) | instskip(NEXT) | instid1(VALU_DEP_2)
	v_cmp_nge_f32_e32 vcc_lo, 1.0, v3
	v_cndmask_b32_e32 v2, v5, v2, vcc_lo
	s_cbranch_scc1 .LBB27_122
; %bb.123:
	s_delay_alu instid0(VALU_DEP_1) | instskip(NEXT) | instid1(VALU_DEP_1)
	v_mul_f32_e32 v2, 4.0, v2
	v_div_scale_f32 v1, null, 0x461c4000, 0x461c4000, v2
	s_delay_alu instid0(VALU_DEP_1) | instskip(SKIP_1) | instid1(TRANS32_DEP_1)
	v_rcp_f32_e32 v3, v1
	v_nop
	v_fma_f32 v4, -v1, v3, 1.0
	s_delay_alu instid0(VALU_DEP_1) | instskip(SKIP_1) | instid1(VALU_DEP_1)
	v_fmac_f32_e32 v3, v4, v3
	v_div_scale_f32 v5, vcc_lo, v2, 0x461c4000, v2
	v_mul_f32_e32 v4, v5, v3
	s_delay_alu instid0(VALU_DEP_1) | instskip(NEXT) | instid1(VALU_DEP_1)
	v_fma_f32 v6, -v1, v4, v5
	v_fmac_f32_e32 v4, v6, v3
	s_delay_alu instid0(VALU_DEP_1) | instskip(NEXT) | instid1(VALU_DEP_1)
	v_fma_f32 v1, -v1, v4, v5
	v_div_fmas_f32 v3, v1, v3, v4
	v_mov_b32_e32 v1, 0
	s_delay_alu instid0(VALU_DEP_2) | instskip(NEXT) | instid1(VALU_DEP_2)
	v_div_fixup_f32 v2, v3, 0x461c4000, v2
	v_dual_mov_b32 v4, v1 :: v_dual_mov_b32 v6, v1
	v_dual_mov_b32 v3, v1 :: v_dual_mov_b32 v5, v1
	;; [unrolled: 1-line block ×15, first 2 shown]
.LBB27_124:
	s_or_b32 exec_lo, exec_lo, s5
	v_or_b32_e32 v33, 0x100, v0
	s_delay_alu instid0(VALU_DEP_1)
	v_cmp_gt_u32_e64 s2, s46, v33
	s_and_saveexec_b32 s5, s2
	s_cbranch_execz .LBB27_128
; %bb.125:
	v_add_nc_u32_e32 v1, s35, v33
	s_movk_i32 s7, 0x2710
	s_brev_b32 s6, 12
	s_delay_alu instid0(VALU_DEP_1) | instskip(NEXT) | instid1(VALU_DEP_1)
	v_lshlrev_b32_e32 v33, 12, v1
	v_add3_u32 v1, v1, v33, 0x7ed55d16
	s_delay_alu instid0(VALU_DEP_1) | instskip(NEXT) | instid1(VALU_DEP_1)
	v_lshrrev_b32_e32 v33, 19, v1
	v_xor3_b32 v1, v1, v33, 0xc761c23c
	s_delay_alu instid0(VALU_DEP_1) | instskip(NEXT) | instid1(VALU_DEP_1)
	v_lshl_add_u32 v1, v1, 5, v1
	v_add_nc_u32_e32 v33, 0xe9f8cc1d, v1
	v_lshl_add_u32 v1, v1, 9, 0xaccf6200
	s_delay_alu instid0(VALU_DEP_1) | instskip(NEXT) | instid1(VALU_DEP_1)
	v_xor_b32_e32 v1, v33, v1
	v_lshlrev_b32_e32 v33, 3, v1
	s_delay_alu instid0(VALU_DEP_1) | instskip(NEXT) | instid1(VALU_DEP_1)
	v_add3_u32 v1, v1, v33, 0xfd7046c5
	v_lshrrev_b32_e32 v33, 16, v1
	s_delay_alu instid0(VALU_DEP_1) | instskip(NEXT) | instid1(VALU_DEP_1)
	v_xor3_b32 v1, v1, v33, 0xb55a4f09
	v_mul_hi_u32 v33, v1, 3
	s_delay_alu instid0(VALU_DEP_1) | instskip(NEXT) | instid1(VALU_DEP_1)
	v_sub_nc_u32_e32 v34, v1, v33
	v_lshrrev_b32_e32 v34, 1, v34
	s_delay_alu instid0(VALU_DEP_1) | instskip(NEXT) | instid1(VALU_DEP_1)
	v_add_nc_u32_e32 v33, v34, v33
	v_lshrrev_b32_e32 v33, 30, v33
	s_delay_alu instid0(VALU_DEP_1) | instskip(NEXT) | instid1(VALU_DEP_1)
	v_mul_lo_u32 v33, 0x7fffffff, v33
	v_sub_nc_u32_e32 v1, v1, v33
	s_delay_alu instid0(VALU_DEP_1)
	v_max_u32_e32 v33, 1, v1
	v_mov_b32_e32 v1, 0
.LBB27_126:                             ; =>This Inner Loop Header: Depth=1
	s_delay_alu instid0(VALU_DEP_2) | instskip(NEXT) | instid1(VALU_DEP_1)
	v_mul_hi_u32 v34, 0xbc8f1391, v33
	v_lshrrev_b32_e32 v34, 15, v34
	s_delay_alu instid0(VALU_DEP_1) | instskip(NEXT) | instid1(VALU_DEP_1)
	v_mul_u32_u24_e32 v35, 0xadc8, v34
	v_sub_nc_u32_e32 v33, v33, v35
	v_mul_u32_u24_e32 v34, 0xd47, v34
	s_delay_alu instid0(VALU_DEP_2) | instskip(NEXT) | instid1(VALU_DEP_2)
	v_mul_lo_u32 v33, 0xbc8f, v33
	v_xor_b32_e32 v35, 0x7fffffff, v34
	v_sub_nc_u32_e32 v36, 0, v34
	s_delay_alu instid0(VALU_DEP_3) | instskip(NEXT) | instid1(VALU_DEP_2)
	v_cmp_lt_u32_e32 vcc_lo, v33, v34
	v_cndmask_b32_e32 v34, v36, v35, vcc_lo
	s_delay_alu instid0(VALU_DEP_1) | instskip(NEXT) | instid1(VALU_DEP_1)
	v_add_nc_u32_e32 v33, v34, v33
	v_mul_hi_u32 v34, 0xbc8f1391, v33
	s_delay_alu instid0(VALU_DEP_1) | instskip(NEXT) | instid1(VALU_DEP_1)
	v_lshrrev_b32_e32 v34, 15, v34
	v_mul_u32_u24_e32 v35, 0xadc8, v34
	v_mul_u32_u24_e32 v34, 0xd47, v34
	s_delay_alu instid0(VALU_DEP_2) | instskip(NEXT) | instid1(VALU_DEP_2)
	v_sub_nc_u32_e32 v35, v33, v35
	v_xor_b32_e32 v36, 0x7fffffff, v34
	v_add_nc_u32_e32 v33, -1, v33
	s_delay_alu instid0(VALU_DEP_3) | instskip(SKIP_1) | instid1(VALU_DEP_2)
	v_mul_lo_u32 v35, 0xbc8f, v35
	v_sub_nc_u32_e32 v37, 0, v34
	v_cmp_lt_u32_e32 vcc_lo, v35, v34
	s_delay_alu instid0(VALU_DEP_2) | instskip(NEXT) | instid1(VALU_DEP_1)
	v_cndmask_b32_e32 v34, v37, v36, vcc_lo
	v_add_nc_u32_e32 v35, v34, v35
	s_delay_alu instid0(VALU_DEP_1) | instskip(NEXT) | instid1(VALU_DEP_1)
	v_mul_hi_u32 v34, 0xbc8f1391, v35
	v_lshrrev_b32_e32 v34, 15, v34
	s_delay_alu instid0(VALU_DEP_1) | instskip(SKIP_1) | instid1(VALU_DEP_2)
	v_mul_u32_u24_e32 v36, 0xadc8, v34
	v_mul_u32_u24_e32 v34, 0xd47, v34
	v_sub_nc_u32_e32 v36, v35, v36
	s_delay_alu instid0(VALU_DEP_2) | instskip(NEXT) | instid1(VALU_DEP_2)
	v_xor_b32_e32 v37, 0x7fffffff, v34
	v_mul_lo_u32 v36, 0xbc8f, v36
	v_sub_nc_u32_e32 v38, 0, v34
	s_delay_alu instid0(VALU_DEP_2) | instskip(NEXT) | instid1(VALU_DEP_2)
	v_cmp_lt_u32_e32 vcc_lo, v36, v34
	v_cndmask_b32_e32 v34, v38, v37, vcc_lo
	s_delay_alu instid0(VALU_DEP_1) | instskip(NEXT) | instid1(VALU_DEP_1)
	v_dual_add_f32 v38, 1.0, v1 :: v_dual_add_nc_u32 v36, v34, v36
	v_mul_hi_u32 v34, 0xbc8f1391, v36
	s_delay_alu instid0(VALU_DEP_1) | instskip(NEXT) | instid1(VALU_DEP_1)
	v_lshrrev_b32_e32 v34, 15, v34
	v_mul_u32_u24_e32 v37, 0xadc8, v34
	v_mul_u32_u24_e32 v39, 0xd47, v34
	v_cvt_f32_u32_e32 v34, v33
	s_delay_alu instid0(VALU_DEP_3) | instskip(NEXT) | instid1(VALU_DEP_3)
	v_sub_nc_u32_e32 v37, v36, v37
	v_xor_b32_e32 v33, 0x7fffffff, v39
	v_dual_sub_nc_u32 v40, 0, v39 :: v_dual_add_nc_u32 v36, -1, v36
	s_delay_alu instid0(VALU_DEP_3) | instskip(NEXT) | instid1(VALU_DEP_2)
	v_mul_lo_u32 v37, 0xbc8f, v37
	v_cvt_f32_u32_e32 v36, v36
	s_delay_alu instid0(VALU_DEP_2) | instskip(NEXT) | instid1(VALU_DEP_4)
	v_cmp_lt_u32_e32 vcc_lo, v37, v39
	v_dual_add_nc_u32 v35, -1, v35 :: v_dual_cndmask_b32 v33, v40, v33, vcc_lo
	s_delay_alu instid0(VALU_DEP_1) | instskip(NEXT) | instid1(VALU_DEP_2)
	v_cvt_f32_u32_e32 v35, v35
	v_add_nc_u32_e32 v33, v33, v37
	s_delay_alu instid0(VALU_DEP_2) | instskip(NEXT) | instid1(VALU_DEP_1)
	v_pk_fma_f32 v[34:35], v[34:35], s[6:7], 0 op_sel_hi:[1,0,0]
	v_pk_mul_f32 v[34:35], v[34:35], v[34:35]
	s_delay_alu instid0(VALU_DEP_1) | instskip(NEXT) | instid1(VALU_DEP_1)
	v_dual_add_nc_u32 v37, -1, v33 :: v_dual_add_f32 v39, v34, v35
	v_cvt_f32_u32_e32 v37, v37
	s_delay_alu instid0(VALU_DEP_2) | instskip(NEXT) | instid1(VALU_DEP_2)
	v_cmp_gt_f32_e32 vcc_lo, 0xf800000, v39
	v_pk_fma_f32 v[34:35], v[36:37], s[6:7], 0 op_sel_hi:[1,0,0]
	s_add_co_i32 s7, s7, -2
	s_delay_alu instid0(SALU_CYCLE_1) | instskip(NEXT) | instid1(VALU_DEP_1)
	s_cmp_lg_u32 s7, 0
	v_pk_mul_f32 v[34:35], v[34:35], v[34:35]
	s_delay_alu instid0(VALU_DEP_1) | instskip(NEXT) | instid1(VALU_DEP_1)
	v_add_f32_e32 v34, v34, v35
	v_dual_mul_f32 v36, 0x4f800000, v39 :: v_dual_mul_f32 v37, 0x4f800000, v34
	s_delay_alu instid0(VALU_DEP_1) | instskip(SKIP_1) | instid1(VALU_DEP_2)
	v_cndmask_b32_e32 v36, v39, v36, vcc_lo
	v_cmp_gt_f32_e64 s3, 0xf800000, v34
	v_sqrt_f32_e32 v35, v36
	v_nop
	s_delay_alu instid0(TRANS32_DEP_1) | instskip(NEXT) | instid1(VALU_DEP_1)
	v_dual_add_nc_u32 v39, -1, v35 :: v_dual_cndmask_b32 v34, v34, v37, s3
	v_dual_add_nc_u32 v37, 1, v35 :: v_dual_fma_f32 v40, -v39, v35, v36
	s_delay_alu instid0(VALU_DEP_2) | instskip(NEXT) | instid1(VALU_DEP_1)
	v_sqrt_f32_e32 v41, v34
	v_fma_f32 v42, -v37, v35, v36
	s_delay_alu instid0(VALU_DEP_2)
	v_cmp_ge_f32_e64 s4, 0, v40
	s_delay_alu instid0(TRANS32_DEP_1) | instid1(VALU_DEP_1)
	v_dual_cndmask_b32 v35, v35, v39, s4 :: v_dual_add_nc_u32 v39, -1, v41
	s_delay_alu instid0(VALU_DEP_3) | instskip(NEXT) | instid1(VALU_DEP_1)
	v_cmp_lt_f32_e64 s4, 0, v42
	v_cndmask_b32_e64 v35, v35, v37, s4
	s_delay_alu instid0(VALU_DEP_3) | instskip(NEXT) | instid1(VALU_DEP_1)
	v_dual_add_nc_u32 v37, 1, v41 :: v_dual_fma_f32 v40, -v39, v41, v34
	v_fma_f32 v43, -v37, v41, v34
	s_delay_alu instid0(VALU_DEP_2) | instskip(NEXT) | instid1(VALU_DEP_1)
	v_cmp_ge_f32_e64 s4, 0, v40
	v_cndmask_b32_e64 v39, v41, v39, s4
	v_mul_f32_e32 v42, 0x37800000, v35
	s_delay_alu instid0(VALU_DEP_4) | instskip(NEXT) | instid1(VALU_DEP_1)
	v_cmp_lt_f32_e64 s4, 0, v43
	v_cndmask_b32_e64 v37, v39, v37, s4
	s_delay_alu instid0(VALU_DEP_3) | instskip(SKIP_1) | instid1(VALU_DEP_2)
	v_cndmask_b32_e32 v35, v35, v42, vcc_lo
	v_cmp_class_f32_e64 vcc_lo, v36, 0x260
	v_dual_cndmask_b32 v35, v35, v36 :: v_dual_mul_f32 v36, 0x37800000, v37
	s_delay_alu instid0(VALU_DEP_1) | instskip(NEXT) | instid1(VALU_DEP_2)
	v_cmp_nge_f32_e32 vcc_lo, 1.0, v35
	v_dual_cndmask_b32 v35, v37, v36, s3 :: v_dual_cndmask_b32 v1, v38, v1, vcc_lo
	v_cmp_class_f32_e64 vcc_lo, v34, 0x260
	s_delay_alu instid0(VALU_DEP_1) | instskip(NEXT) | instid1(VALU_DEP_1)
	v_dual_add_f32 v36, 1.0, v1 :: v_dual_cndmask_b32 v34, v35, v34, vcc_lo
	v_cmp_nge_f32_e32 vcc_lo, 1.0, v34
	s_delay_alu instid0(VALU_DEP_2)
	v_cndmask_b32_e32 v1, v36, v1, vcc_lo
	s_cbranch_scc1 .LBB27_126
; %bb.127:
	s_delay_alu instid0(VALU_DEP_1) | instskip(NEXT) | instid1(VALU_DEP_1)
	v_mul_f32_e32 v1, 4.0, v1
	v_div_scale_f32 v33, null, 0x461c4000, 0x461c4000, v1
	s_delay_alu instid0(VALU_DEP_1) | instskip(SKIP_1) | instid1(TRANS32_DEP_1)
	v_rcp_f32_e32 v34, v33
	v_nop
	v_fma_f32 v35, -v33, v34, 1.0
	s_delay_alu instid0(VALU_DEP_1) | instskip(SKIP_1) | instid1(VALU_DEP_1)
	v_fmac_f32_e32 v34, v35, v34
	v_div_scale_f32 v35, vcc_lo, v1, 0x461c4000, v1
	v_mul_f32_e32 v36, v35, v34
	s_delay_alu instid0(VALU_DEP_1) | instskip(NEXT) | instid1(VALU_DEP_1)
	v_fma_f32 v37, -v33, v36, v35
	v_fmac_f32_e32 v36, v37, v34
	s_delay_alu instid0(VALU_DEP_1) | instskip(NEXT) | instid1(VALU_DEP_1)
	v_fma_f32 v33, -v33, v36, v35
	v_div_fmas_f32 v33, v33, v34, v36
	s_delay_alu instid0(VALU_DEP_1)
	v_div_fixup_f32 v1, v33, 0x461c4000, v1
.LBB27_128:
	s_or_b32 exec_lo, exec_lo, s5
	v_or_b32_e32 v33, 0x200, v0
	s_delay_alu instid0(VALU_DEP_1)
	v_cmp_gt_u32_e64 s3, s46, v33
	s_and_saveexec_b32 s7, s3
	s_cbranch_execz .LBB27_132
; %bb.129:
	v_add_nc_u32_e32 v4, s35, v33
	s_movk_i32 s8, 0x2710
	s_brev_b32 s6, 12
	s_delay_alu instid0(VALU_DEP_1) | instskip(NEXT) | instid1(VALU_DEP_1)
	v_lshlrev_b32_e32 v33, 12, v4
	v_add3_u32 v4, v4, v33, 0x7ed55d16
	s_delay_alu instid0(VALU_DEP_1) | instskip(NEXT) | instid1(VALU_DEP_1)
	v_lshrrev_b32_e32 v33, 19, v4
	v_xor3_b32 v4, v4, v33, 0xc761c23c
	s_delay_alu instid0(VALU_DEP_1) | instskip(NEXT) | instid1(VALU_DEP_1)
	v_lshl_add_u32 v4, v4, 5, v4
	v_add_nc_u32_e32 v33, 0xe9f8cc1d, v4
	v_lshl_add_u32 v4, v4, 9, 0xaccf6200
	s_delay_alu instid0(VALU_DEP_1) | instskip(NEXT) | instid1(VALU_DEP_1)
	v_xor_b32_e32 v4, v33, v4
	v_lshlrev_b32_e32 v33, 3, v4
	s_delay_alu instid0(VALU_DEP_1) | instskip(NEXT) | instid1(VALU_DEP_1)
	v_add3_u32 v4, v4, v33, 0xfd7046c5
	v_lshrrev_b32_e32 v33, 16, v4
	s_delay_alu instid0(VALU_DEP_1) | instskip(NEXT) | instid1(VALU_DEP_1)
	v_xor3_b32 v4, v4, v33, 0xb55a4f09
	v_mul_hi_u32 v33, v4, 3
	s_delay_alu instid0(VALU_DEP_1) | instskip(NEXT) | instid1(VALU_DEP_1)
	v_sub_nc_u32_e32 v34, v4, v33
	v_lshrrev_b32_e32 v34, 1, v34
	s_delay_alu instid0(VALU_DEP_1) | instskip(NEXT) | instid1(VALU_DEP_1)
	v_add_nc_u32_e32 v33, v34, v33
	v_lshrrev_b32_e32 v33, 30, v33
	s_delay_alu instid0(VALU_DEP_1) | instskip(NEXT) | instid1(VALU_DEP_1)
	v_mul_lo_u32 v33, 0x7fffffff, v33
	v_sub_nc_u32_e32 v4, v4, v33
	s_delay_alu instid0(VALU_DEP_1)
	v_max_u32_e32 v33, 1, v4
	v_mov_b32_e32 v4, 0
.LBB27_130:                             ; =>This Inner Loop Header: Depth=1
	s_delay_alu instid0(VALU_DEP_2) | instskip(SKIP_1) | instid1(SALU_CYCLE_1)
	v_mul_hi_u32 v34, 0xbc8f1391, v33
	s_add_co_i32 s8, s8, -2
	s_cmp_lg_u32 s8, 0
	s_delay_alu instid0(VALU_DEP_1) | instskip(NEXT) | instid1(VALU_DEP_1)
	v_lshrrev_b32_e32 v34, 15, v34
	v_mul_u32_u24_e32 v35, 0xadc8, v34
	s_delay_alu instid0(VALU_DEP_1) | instskip(SKIP_1) | instid1(VALU_DEP_2)
	v_sub_nc_u32_e32 v33, v33, v35
	v_mul_u32_u24_e32 v34, 0xd47, v34
	v_mul_lo_u32 v33, 0xbc8f, v33
	s_delay_alu instid0(VALU_DEP_2) | instskip(SKIP_1) | instid1(VALU_DEP_3)
	v_xor_b32_e32 v35, 0x7fffffff, v34
	v_sub_nc_u32_e32 v36, 0, v34
	v_cmp_lt_u32_e32 vcc_lo, v33, v34
	s_delay_alu instid0(VALU_DEP_2) | instskip(NEXT) | instid1(VALU_DEP_1)
	v_cndmask_b32_e32 v34, v36, v35, vcc_lo
	v_add_nc_u32_e32 v33, v34, v33
	s_delay_alu instid0(VALU_DEP_1) | instskip(NEXT) | instid1(VALU_DEP_1)
	v_mul_hi_u32 v34, 0xbc8f1391, v33
	v_lshrrev_b32_e32 v34, 15, v34
	s_delay_alu instid0(VALU_DEP_1) | instskip(SKIP_1) | instid1(VALU_DEP_2)
	v_mul_u32_u24_e32 v35, 0xadc8, v34
	v_mul_u32_u24_e32 v34, 0xd47, v34
	v_sub_nc_u32_e32 v35, v33, v35
	s_delay_alu instid0(VALU_DEP_2) | instskip(SKIP_1) | instid1(VALU_DEP_3)
	v_xor_b32_e32 v36, 0x7fffffff, v34
	v_add_nc_u32_e32 v33, -1, v33
	v_mul_lo_u32 v35, 0xbc8f, v35
	v_sub_nc_u32_e32 v37, 0, v34
	s_delay_alu instid0(VALU_DEP_2) | instskip(NEXT) | instid1(VALU_DEP_2)
	v_cmp_lt_u32_e32 vcc_lo, v35, v34
	v_cndmask_b32_e32 v34, v37, v36, vcc_lo
	s_delay_alu instid0(VALU_DEP_1) | instskip(NEXT) | instid1(VALU_DEP_1)
	v_add_nc_u32_e32 v35, v34, v35
	v_mul_hi_u32 v34, 0xbc8f1391, v35
	s_delay_alu instid0(VALU_DEP_1) | instskip(NEXT) | instid1(VALU_DEP_1)
	v_lshrrev_b32_e32 v34, 15, v34
	v_mul_u32_u24_e32 v36, 0xadc8, v34
	v_mul_u32_u24_e32 v34, 0xd47, v34
	s_delay_alu instid0(VALU_DEP_2) | instskip(NEXT) | instid1(VALU_DEP_2)
	v_sub_nc_u32_e32 v36, v35, v36
	v_xor_b32_e32 v37, 0x7fffffff, v34
	s_delay_alu instid0(VALU_DEP_2) | instskip(SKIP_1) | instid1(VALU_DEP_2)
	v_mul_lo_u32 v36, 0xbc8f, v36
	v_sub_nc_u32_e32 v38, 0, v34
	v_cmp_lt_u32_e32 vcc_lo, v36, v34
	s_delay_alu instid0(VALU_DEP_2) | instskip(NEXT) | instid1(VALU_DEP_1)
	v_dual_cndmask_b32 v34, v38, v37, vcc_lo :: v_dual_add_f32 v38, 1.0, v4
	v_add_nc_u32_e32 v36, v34, v36
	s_delay_alu instid0(VALU_DEP_1) | instskip(NEXT) | instid1(VALU_DEP_1)
	v_mul_hi_u32 v34, 0xbc8f1391, v36
	v_lshrrev_b32_e32 v34, 15, v34
	s_delay_alu instid0(VALU_DEP_1) | instskip(SKIP_2) | instid1(VALU_DEP_3)
	v_mul_u32_u24_e32 v37, 0xadc8, v34
	v_mul_u32_u24_e32 v39, 0xd47, v34
	v_cvt_f32_u32_e32 v34, v33
	v_sub_nc_u32_e32 v37, v36, v37
	s_delay_alu instid0(VALU_DEP_3) | instskip(SKIP_1) | instid1(VALU_DEP_3)
	v_xor_b32_e32 v33, 0x7fffffff, v39
	v_dual_sub_nc_u32 v40, 0, v39 :: v_dual_add_nc_u32 v36, -1, v36
	v_mul_lo_u32 v37, 0xbc8f, v37
	s_delay_alu instid0(VALU_DEP_2) | instskip(NEXT) | instid1(VALU_DEP_2)
	v_cvt_f32_u32_e32 v36, v36
	v_cmp_lt_u32_e32 vcc_lo, v37, v39
	s_delay_alu instid0(VALU_DEP_4) | instskip(NEXT) | instid1(VALU_DEP_1)
	v_dual_add_nc_u32 v35, -1, v35 :: v_dual_cndmask_b32 v33, v40, v33, vcc_lo
	v_cvt_f32_u32_e32 v35, v35
	s_delay_alu instid0(VALU_DEP_2) | instskip(NEXT) | instid1(VALU_DEP_2)
	v_add_nc_u32_e32 v33, v33, v37
	v_pk_fma_f32 v[34:35], v[34:35], s[6:7], 0 op_sel_hi:[1,0,0]
	s_delay_alu instid0(VALU_DEP_1) | instskip(NEXT) | instid1(VALU_DEP_1)
	v_pk_mul_f32 v[34:35], v[34:35], v[34:35]
	v_dual_add_nc_u32 v37, -1, v33 :: v_dual_add_f32 v39, v34, v35
	s_delay_alu instid0(VALU_DEP_1) | instskip(NEXT) | instid1(VALU_DEP_2)
	v_cvt_f32_u32_e32 v37, v37
	v_cmp_gt_f32_e32 vcc_lo, 0xf800000, v39
	s_delay_alu instid0(VALU_DEP_2) | instskip(NEXT) | instid1(VALU_DEP_1)
	v_pk_fma_f32 v[34:35], v[36:37], s[6:7], 0 op_sel_hi:[1,0,0]
	v_pk_mul_f32 v[34:35], v[34:35], v[34:35]
	s_delay_alu instid0(VALU_DEP_1) | instskip(NEXT) | instid1(VALU_DEP_1)
	v_add_f32_e32 v34, v34, v35
	v_dual_mul_f32 v36, 0x4f800000, v39 :: v_dual_mul_f32 v37, 0x4f800000, v34
	s_delay_alu instid0(VALU_DEP_1) | instskip(SKIP_1) | instid1(VALU_DEP_2)
	v_cndmask_b32_e32 v36, v39, v36, vcc_lo
	v_cmp_gt_f32_e64 s4, 0xf800000, v34
	v_sqrt_f32_e32 v35, v36
	v_nop
	s_delay_alu instid0(TRANS32_DEP_1) | instskip(NEXT) | instid1(VALU_DEP_1)
	v_dual_add_nc_u32 v39, -1, v35 :: v_dual_cndmask_b32 v34, v34, v37, s4
	v_dual_add_nc_u32 v37, 1, v35 :: v_dual_fma_f32 v40, -v39, v35, v36
	s_delay_alu instid0(VALU_DEP_2) | instskip(NEXT) | instid1(VALU_DEP_1)
	v_sqrt_f32_e32 v41, v34
	v_fma_f32 v42, -v37, v35, v36
	s_delay_alu instid0(VALU_DEP_2)
	v_cmp_ge_f32_e64 s5, 0, v40
	s_delay_alu instid0(TRANS32_DEP_1) | instid1(VALU_DEP_1)
	v_dual_cndmask_b32 v35, v35, v39, s5 :: v_dual_add_nc_u32 v39, -1, v41
	s_delay_alu instid0(VALU_DEP_3) | instskip(NEXT) | instid1(VALU_DEP_1)
	v_cmp_lt_f32_e64 s5, 0, v42
	v_cndmask_b32_e64 v35, v35, v37, s5
	s_delay_alu instid0(VALU_DEP_3) | instskip(NEXT) | instid1(VALU_DEP_1)
	v_dual_add_nc_u32 v37, 1, v41 :: v_dual_fma_f32 v40, -v39, v41, v34
	v_fma_f32 v43, -v37, v41, v34
	s_delay_alu instid0(VALU_DEP_2) | instskip(NEXT) | instid1(VALU_DEP_1)
	v_cmp_ge_f32_e64 s5, 0, v40
	v_cndmask_b32_e64 v39, v41, v39, s5
	v_mul_f32_e32 v42, 0x37800000, v35
	s_delay_alu instid0(VALU_DEP_4) | instskip(NEXT) | instid1(VALU_DEP_1)
	v_cmp_lt_f32_e64 s5, 0, v43
	v_cndmask_b32_e64 v37, v39, v37, s5
	s_delay_alu instid0(VALU_DEP_3) | instskip(SKIP_1) | instid1(VALU_DEP_2)
	v_cndmask_b32_e32 v35, v35, v42, vcc_lo
	v_cmp_class_f32_e64 vcc_lo, v36, 0x260
	v_cndmask_b32_e32 v35, v35, v36, vcc_lo
	s_delay_alu instid0(VALU_DEP_1) | instskip(SKIP_3) | instid1(VALU_DEP_2)
	v_cmp_nge_f32_e32 vcc_lo, 1.0, v35
	v_cndmask_b32_e32 v4, v38, v4, vcc_lo
	v_mul_f32_e32 v36, 0x37800000, v37
	v_cmp_class_f32_e64 vcc_lo, v34, 0x260
	v_cndmask_b32_e64 v35, v37, v36, s4
	s_delay_alu instid0(VALU_DEP_1) | instskip(NEXT) | instid1(VALU_DEP_1)
	v_dual_add_f32 v36, 1.0, v4 :: v_dual_cndmask_b32 v34, v35, v34, vcc_lo
	v_cmp_nge_f32_e32 vcc_lo, 1.0, v34
	s_delay_alu instid0(VALU_DEP_2)
	v_cndmask_b32_e32 v4, v36, v4, vcc_lo
	s_cbranch_scc1 .LBB27_130
; %bb.131:
	s_delay_alu instid0(VALU_DEP_1) | instskip(NEXT) | instid1(VALU_DEP_1)
	v_mul_f32_e32 v4, 4.0, v4
	v_div_scale_f32 v33, null, 0x461c4000, 0x461c4000, v4
	s_delay_alu instid0(VALU_DEP_1) | instskip(SKIP_1) | instid1(TRANS32_DEP_1)
	v_rcp_f32_e32 v34, v33
	v_nop
	v_fma_f32 v35, -v33, v34, 1.0
	s_delay_alu instid0(VALU_DEP_1) | instskip(SKIP_1) | instid1(VALU_DEP_1)
	v_fmac_f32_e32 v34, v35, v34
	v_div_scale_f32 v35, vcc_lo, v4, 0x461c4000, v4
	v_mul_f32_e32 v36, v35, v34
	s_delay_alu instid0(VALU_DEP_1) | instskip(NEXT) | instid1(VALU_DEP_1)
	v_fma_f32 v37, -v33, v36, v35
	v_fmac_f32_e32 v36, v37, v34
	s_delay_alu instid0(VALU_DEP_1) | instskip(NEXT) | instid1(VALU_DEP_1)
	v_fma_f32 v33, -v33, v36, v35
	v_div_fmas_f32 v33, v33, v34, v36
	s_delay_alu instid0(VALU_DEP_1)
	v_div_fixup_f32 v4, v33, 0x461c4000, v4
.LBB27_132:
	s_or_b32 exec_lo, exec_lo, s7
	v_or_b32_e32 v33, 0x300, v0
	s_delay_alu instid0(VALU_DEP_1)
	v_cmp_gt_u32_e64 s4, s46, v33
	s_and_saveexec_b32 s7, s4
	s_cbranch_execz .LBB27_136
; %bb.133:
	v_add_nc_u32_e32 v3, s35, v33
	s_movk_i32 s9, 0x2710
	s_brev_b32 s8, 12
	s_delay_alu instid0(VALU_DEP_1) | instskip(NEXT) | instid1(VALU_DEP_1)
	v_lshlrev_b32_e32 v33, 12, v3
	v_add3_u32 v3, v3, v33, 0x7ed55d16
	s_delay_alu instid0(VALU_DEP_1) | instskip(NEXT) | instid1(VALU_DEP_1)
	v_lshrrev_b32_e32 v33, 19, v3
	v_xor3_b32 v3, v3, v33, 0xc761c23c
	s_delay_alu instid0(VALU_DEP_1) | instskip(NEXT) | instid1(VALU_DEP_1)
	v_lshl_add_u32 v3, v3, 5, v3
	v_add_nc_u32_e32 v33, 0xe9f8cc1d, v3
	v_lshl_add_u32 v3, v3, 9, 0xaccf6200
	s_delay_alu instid0(VALU_DEP_1) | instskip(NEXT) | instid1(VALU_DEP_1)
	v_xor_b32_e32 v3, v33, v3
	v_lshlrev_b32_e32 v33, 3, v3
	s_delay_alu instid0(VALU_DEP_1) | instskip(NEXT) | instid1(VALU_DEP_1)
	v_add3_u32 v3, v3, v33, 0xfd7046c5
	v_lshrrev_b32_e32 v33, 16, v3
	s_delay_alu instid0(VALU_DEP_1) | instskip(NEXT) | instid1(VALU_DEP_1)
	v_xor3_b32 v3, v3, v33, 0xb55a4f09
	v_mul_hi_u32 v33, v3, 3
	s_delay_alu instid0(VALU_DEP_1) | instskip(NEXT) | instid1(VALU_DEP_1)
	v_sub_nc_u32_e32 v34, v3, v33
	v_lshrrev_b32_e32 v34, 1, v34
	s_delay_alu instid0(VALU_DEP_1) | instskip(NEXT) | instid1(VALU_DEP_1)
	v_add_nc_u32_e32 v33, v34, v33
	v_lshrrev_b32_e32 v33, 30, v33
	s_delay_alu instid0(VALU_DEP_1) | instskip(NEXT) | instid1(VALU_DEP_1)
	v_mul_lo_u32 v33, 0x7fffffff, v33
	v_sub_nc_u32_e32 v3, v3, v33
	s_delay_alu instid0(VALU_DEP_1)
	v_max_u32_e32 v33, 1, v3
	v_mov_b32_e32 v3, 0
.LBB27_134:                             ; =>This Inner Loop Header: Depth=1
	s_delay_alu instid0(VALU_DEP_2) | instskip(NEXT) | instid1(VALU_DEP_1)
	v_mul_hi_u32 v34, 0xbc8f1391, v33
	v_lshrrev_b32_e32 v34, 15, v34
	s_delay_alu instid0(VALU_DEP_1) | instskip(NEXT) | instid1(VALU_DEP_1)
	v_mul_u32_u24_e32 v35, 0xadc8, v34
	v_sub_nc_u32_e32 v33, v33, v35
	v_mul_u32_u24_e32 v34, 0xd47, v34
	s_delay_alu instid0(VALU_DEP_2) | instskip(NEXT) | instid1(VALU_DEP_2)
	v_mul_lo_u32 v33, 0xbc8f, v33
	v_xor_b32_e32 v35, 0x7fffffff, v34
	v_sub_nc_u32_e32 v36, 0, v34
	s_delay_alu instid0(VALU_DEP_3) | instskip(NEXT) | instid1(VALU_DEP_2)
	v_cmp_lt_u32_e32 vcc_lo, v33, v34
	v_cndmask_b32_e32 v34, v36, v35, vcc_lo
	s_delay_alu instid0(VALU_DEP_1) | instskip(NEXT) | instid1(VALU_DEP_1)
	v_add_nc_u32_e32 v33, v34, v33
	v_mul_hi_u32 v34, 0xbc8f1391, v33
	s_delay_alu instid0(VALU_DEP_1) | instskip(NEXT) | instid1(VALU_DEP_1)
	v_lshrrev_b32_e32 v34, 15, v34
	v_mul_u32_u24_e32 v35, 0xadc8, v34
	v_mul_u32_u24_e32 v34, 0xd47, v34
	s_delay_alu instid0(VALU_DEP_2) | instskip(NEXT) | instid1(VALU_DEP_2)
	v_sub_nc_u32_e32 v35, v33, v35
	v_xor_b32_e32 v36, 0x7fffffff, v34
	v_add_nc_u32_e32 v33, -1, v33
	s_delay_alu instid0(VALU_DEP_3) | instskip(SKIP_1) | instid1(VALU_DEP_2)
	v_mul_lo_u32 v35, 0xbc8f, v35
	v_sub_nc_u32_e32 v37, 0, v34
	v_cmp_lt_u32_e32 vcc_lo, v35, v34
	s_delay_alu instid0(VALU_DEP_2) | instskip(NEXT) | instid1(VALU_DEP_1)
	v_cndmask_b32_e32 v34, v37, v36, vcc_lo
	v_add_nc_u32_e32 v35, v34, v35
	s_delay_alu instid0(VALU_DEP_1) | instskip(NEXT) | instid1(VALU_DEP_1)
	v_mul_hi_u32 v34, 0xbc8f1391, v35
	v_lshrrev_b32_e32 v34, 15, v34
	s_delay_alu instid0(VALU_DEP_1) | instskip(SKIP_1) | instid1(VALU_DEP_2)
	v_mul_u32_u24_e32 v36, 0xadc8, v34
	v_mul_u32_u24_e32 v34, 0xd47, v34
	v_sub_nc_u32_e32 v36, v35, v36
	s_delay_alu instid0(VALU_DEP_2) | instskip(NEXT) | instid1(VALU_DEP_2)
	v_xor_b32_e32 v37, 0x7fffffff, v34
	v_mul_lo_u32 v36, 0xbc8f, v36
	v_sub_nc_u32_e32 v38, 0, v34
	s_delay_alu instid0(VALU_DEP_2) | instskip(NEXT) | instid1(VALU_DEP_2)
	v_cmp_lt_u32_e32 vcc_lo, v36, v34
	v_dual_cndmask_b32 v34, v38, v37, vcc_lo :: v_dual_add_f32 v38, 1.0, v3
	s_delay_alu instid0(VALU_DEP_1) | instskip(NEXT) | instid1(VALU_DEP_1)
	v_add_nc_u32_e32 v36, v34, v36
	v_mul_hi_u32 v34, 0xbc8f1391, v36
	s_delay_alu instid0(VALU_DEP_1) | instskip(NEXT) | instid1(VALU_DEP_1)
	v_lshrrev_b32_e32 v34, 15, v34
	v_mul_u32_u24_e32 v37, 0xadc8, v34
	v_mul_u32_u24_e32 v39, 0xd47, v34
	v_cvt_f32_u32_e32 v34, v33
	s_delay_alu instid0(VALU_DEP_3) | instskip(NEXT) | instid1(VALU_DEP_3)
	v_sub_nc_u32_e32 v37, v36, v37
	v_xor_b32_e32 v33, 0x7fffffff, v39
	v_dual_sub_nc_u32 v40, 0, v39 :: v_dual_add_nc_u32 v36, -1, v36
	s_delay_alu instid0(VALU_DEP_3) | instskip(NEXT) | instid1(VALU_DEP_2)
	v_mul_lo_u32 v37, 0xbc8f, v37
	v_cvt_f32_u32_e32 v36, v36
	s_delay_alu instid0(VALU_DEP_2) | instskip(NEXT) | instid1(VALU_DEP_4)
	v_cmp_lt_u32_e32 vcc_lo, v37, v39
	v_dual_add_nc_u32 v35, -1, v35 :: v_dual_cndmask_b32 v33, v40, v33, vcc_lo
	s_delay_alu instid0(VALU_DEP_1) | instskip(NEXT) | instid1(VALU_DEP_2)
	v_cvt_f32_u32_e32 v35, v35
	v_add_nc_u32_e32 v33, v33, v37
	s_delay_alu instid0(VALU_DEP_2) | instskip(NEXT) | instid1(VALU_DEP_1)
	v_pk_fma_f32 v[34:35], v[34:35], s[8:9], 0 op_sel_hi:[1,0,0]
	v_pk_mul_f32 v[34:35], v[34:35], v[34:35]
	s_delay_alu instid0(VALU_DEP_1) | instskip(NEXT) | instid1(VALU_DEP_1)
	v_dual_add_nc_u32 v37, -1, v33 :: v_dual_add_f32 v39, v34, v35
	v_cvt_f32_u32_e32 v37, v37
	s_delay_alu instid0(VALU_DEP_2) | instskip(NEXT) | instid1(VALU_DEP_2)
	v_cmp_gt_f32_e32 vcc_lo, 0xf800000, v39
	v_pk_fma_f32 v[34:35], v[36:37], s[8:9], 0 op_sel_hi:[1,0,0]
	s_add_co_i32 s9, s9, -2
	s_delay_alu instid0(SALU_CYCLE_1) | instskip(NEXT) | instid1(VALU_DEP_1)
	s_cmp_lg_u32 s9, 0
	v_pk_mul_f32 v[34:35], v[34:35], v[34:35]
	s_delay_alu instid0(VALU_DEP_1) | instskip(NEXT) | instid1(VALU_DEP_1)
	v_add_f32_e32 v34, v34, v35
	v_dual_mul_f32 v36, 0x4f800000, v39 :: v_dual_mul_f32 v37, 0x4f800000, v34
	s_delay_alu instid0(VALU_DEP_1) | instskip(SKIP_1) | instid1(VALU_DEP_2)
	v_cndmask_b32_e32 v36, v39, v36, vcc_lo
	v_cmp_gt_f32_e64 s5, 0xf800000, v34
	v_sqrt_f32_e32 v35, v36
	v_nop
	s_delay_alu instid0(TRANS32_DEP_1) | instskip(NEXT) | instid1(VALU_DEP_1)
	v_dual_add_nc_u32 v39, -1, v35 :: v_dual_cndmask_b32 v34, v34, v37, s5
	v_dual_add_nc_u32 v37, 1, v35 :: v_dual_fma_f32 v40, -v39, v35, v36
	s_delay_alu instid0(VALU_DEP_2) | instskip(NEXT) | instid1(VALU_DEP_1)
	v_sqrt_f32_e32 v41, v34
	v_fma_f32 v42, -v37, v35, v36
	s_delay_alu instid0(VALU_DEP_2)
	v_cmp_ge_f32_e64 s6, 0, v40
	s_delay_alu instid0(TRANS32_DEP_1) | instid1(VALU_DEP_1)
	v_dual_cndmask_b32 v35, v35, v39, s6 :: v_dual_add_nc_u32 v39, -1, v41
	s_delay_alu instid0(VALU_DEP_3) | instskip(NEXT) | instid1(VALU_DEP_1)
	v_cmp_lt_f32_e64 s6, 0, v42
	v_cndmask_b32_e64 v35, v35, v37, s6
	s_delay_alu instid0(VALU_DEP_3) | instskip(NEXT) | instid1(VALU_DEP_1)
	v_dual_add_nc_u32 v37, 1, v41 :: v_dual_fma_f32 v40, -v39, v41, v34
	v_fma_f32 v43, -v37, v41, v34
	s_delay_alu instid0(VALU_DEP_2) | instskip(NEXT) | instid1(VALU_DEP_1)
	v_cmp_ge_f32_e64 s6, 0, v40
	v_cndmask_b32_e64 v39, v41, v39, s6
	v_mul_f32_e32 v42, 0x37800000, v35
	s_delay_alu instid0(VALU_DEP_4) | instskip(NEXT) | instid1(VALU_DEP_1)
	v_cmp_lt_f32_e64 s6, 0, v43
	v_cndmask_b32_e64 v37, v39, v37, s6
	s_delay_alu instid0(VALU_DEP_3) | instskip(SKIP_1) | instid1(VALU_DEP_2)
	v_cndmask_b32_e32 v35, v35, v42, vcc_lo
	v_cmp_class_f32_e64 vcc_lo, v36, 0x260
	v_cndmask_b32_e32 v35, v35, v36, vcc_lo
	s_delay_alu instid0(VALU_DEP_1) | instskip(SKIP_2) | instid1(VALU_DEP_2)
	v_cmp_nge_f32_e32 vcc_lo, 1.0, v35
	v_dual_cndmask_b32 v3, v38, v3 :: v_dual_mul_f32 v36, 0x37800000, v37
	v_cmp_class_f32_e64 vcc_lo, v34, 0x260
	v_dual_cndmask_b32 v35, v37, v36, s5 :: v_dual_add_f32 v36, 1.0, v3
	s_delay_alu instid0(VALU_DEP_1) | instskip(NEXT) | instid1(VALU_DEP_1)
	v_cndmask_b32_e32 v34, v35, v34, vcc_lo
	v_cmp_nge_f32_e32 vcc_lo, 1.0, v34
	s_delay_alu instid0(VALU_DEP_3)
	v_cndmask_b32_e32 v3, v36, v3, vcc_lo
	s_cbranch_scc1 .LBB27_134
; %bb.135:
	s_delay_alu instid0(VALU_DEP_1) | instskip(NEXT) | instid1(VALU_DEP_1)
	v_mul_f32_e32 v3, 4.0, v3
	v_div_scale_f32 v33, null, 0x461c4000, 0x461c4000, v3
	s_delay_alu instid0(VALU_DEP_1) | instskip(SKIP_1) | instid1(TRANS32_DEP_1)
	v_rcp_f32_e32 v34, v33
	v_nop
	v_fma_f32 v35, -v33, v34, 1.0
	s_delay_alu instid0(VALU_DEP_1) | instskip(SKIP_1) | instid1(VALU_DEP_1)
	v_fmac_f32_e32 v34, v35, v34
	v_div_scale_f32 v35, vcc_lo, v3, 0x461c4000, v3
	v_mul_f32_e32 v36, v35, v34
	s_delay_alu instid0(VALU_DEP_1) | instskip(NEXT) | instid1(VALU_DEP_1)
	v_fma_f32 v37, -v33, v36, v35
	v_fmac_f32_e32 v36, v37, v34
	s_delay_alu instid0(VALU_DEP_1) | instskip(NEXT) | instid1(VALU_DEP_1)
	v_fma_f32 v33, -v33, v36, v35
	v_div_fmas_f32 v33, v33, v34, v36
	s_delay_alu instid0(VALU_DEP_1)
	v_div_fixup_f32 v3, v33, 0x461c4000, v3
.LBB27_136:
	s_or_b32 exec_lo, exec_lo, s7
	v_or_b32_e32 v33, 0x400, v0
	s_delay_alu instid0(VALU_DEP_1)
	v_cmp_gt_u32_e64 s5, s46, v33
	s_and_saveexec_b32 s9, s5
	s_cbranch_execz .LBB27_140
; %bb.137:
	v_add_nc_u32_e32 v6, s35, v33
	s_movk_i32 s10, 0x2710
	s_brev_b32 s8, 12
	s_delay_alu instid0(VALU_DEP_1) | instskip(NEXT) | instid1(VALU_DEP_1)
	v_lshlrev_b32_e32 v33, 12, v6
	v_add3_u32 v6, v6, v33, 0x7ed55d16
	s_delay_alu instid0(VALU_DEP_1) | instskip(NEXT) | instid1(VALU_DEP_1)
	v_lshrrev_b32_e32 v33, 19, v6
	v_xor3_b32 v6, v6, v33, 0xc761c23c
	s_delay_alu instid0(VALU_DEP_1) | instskip(NEXT) | instid1(VALU_DEP_1)
	v_lshl_add_u32 v6, v6, 5, v6
	v_add_nc_u32_e32 v33, 0xe9f8cc1d, v6
	v_lshl_add_u32 v6, v6, 9, 0xaccf6200
	s_delay_alu instid0(VALU_DEP_1) | instskip(NEXT) | instid1(VALU_DEP_1)
	v_xor_b32_e32 v6, v33, v6
	v_lshlrev_b32_e32 v33, 3, v6
	s_delay_alu instid0(VALU_DEP_1) | instskip(NEXT) | instid1(VALU_DEP_1)
	v_add3_u32 v6, v6, v33, 0xfd7046c5
	v_lshrrev_b32_e32 v33, 16, v6
	s_delay_alu instid0(VALU_DEP_1) | instskip(NEXT) | instid1(VALU_DEP_1)
	v_xor3_b32 v6, v6, v33, 0xb55a4f09
	v_mul_hi_u32 v33, v6, 3
	s_delay_alu instid0(VALU_DEP_1) | instskip(NEXT) | instid1(VALU_DEP_1)
	v_sub_nc_u32_e32 v34, v6, v33
	v_lshrrev_b32_e32 v34, 1, v34
	s_delay_alu instid0(VALU_DEP_1) | instskip(NEXT) | instid1(VALU_DEP_1)
	v_add_nc_u32_e32 v33, v34, v33
	v_lshrrev_b32_e32 v33, 30, v33
	s_delay_alu instid0(VALU_DEP_1) | instskip(NEXT) | instid1(VALU_DEP_1)
	v_mul_lo_u32 v33, 0x7fffffff, v33
	v_sub_nc_u32_e32 v6, v6, v33
	s_delay_alu instid0(VALU_DEP_1)
	v_max_u32_e32 v33, 1, v6
	v_mov_b32_e32 v6, 0
.LBB27_138:                             ; =>This Inner Loop Header: Depth=1
	s_delay_alu instid0(VALU_DEP_2) | instskip(SKIP_1) | instid1(SALU_CYCLE_1)
	v_mul_hi_u32 v34, 0xbc8f1391, v33
	s_add_co_i32 s10, s10, -2
	s_cmp_lg_u32 s10, 0
	s_delay_alu instid0(VALU_DEP_1) | instskip(NEXT) | instid1(VALU_DEP_1)
	v_lshrrev_b32_e32 v34, 15, v34
	v_mul_u32_u24_e32 v35, 0xadc8, v34
	s_delay_alu instid0(VALU_DEP_1) | instskip(SKIP_1) | instid1(VALU_DEP_2)
	v_sub_nc_u32_e32 v33, v33, v35
	v_mul_u32_u24_e32 v34, 0xd47, v34
	v_mul_lo_u32 v33, 0xbc8f, v33
	s_delay_alu instid0(VALU_DEP_2) | instskip(SKIP_1) | instid1(VALU_DEP_3)
	v_xor_b32_e32 v35, 0x7fffffff, v34
	v_sub_nc_u32_e32 v36, 0, v34
	v_cmp_lt_u32_e32 vcc_lo, v33, v34
	s_delay_alu instid0(VALU_DEP_2) | instskip(NEXT) | instid1(VALU_DEP_1)
	v_cndmask_b32_e32 v34, v36, v35, vcc_lo
	v_add_nc_u32_e32 v33, v34, v33
	s_delay_alu instid0(VALU_DEP_1) | instskip(NEXT) | instid1(VALU_DEP_1)
	v_mul_hi_u32 v34, 0xbc8f1391, v33
	v_lshrrev_b32_e32 v34, 15, v34
	s_delay_alu instid0(VALU_DEP_1) | instskip(SKIP_1) | instid1(VALU_DEP_2)
	v_mul_u32_u24_e32 v35, 0xadc8, v34
	v_mul_u32_u24_e32 v34, 0xd47, v34
	v_sub_nc_u32_e32 v35, v33, v35
	s_delay_alu instid0(VALU_DEP_2) | instskip(SKIP_1) | instid1(VALU_DEP_3)
	v_xor_b32_e32 v36, 0x7fffffff, v34
	v_add_nc_u32_e32 v33, -1, v33
	v_mul_lo_u32 v35, 0xbc8f, v35
	v_sub_nc_u32_e32 v37, 0, v34
	s_delay_alu instid0(VALU_DEP_2) | instskip(NEXT) | instid1(VALU_DEP_2)
	v_cmp_lt_u32_e32 vcc_lo, v35, v34
	v_cndmask_b32_e32 v34, v37, v36, vcc_lo
	s_delay_alu instid0(VALU_DEP_1) | instskip(NEXT) | instid1(VALU_DEP_1)
	v_add_nc_u32_e32 v35, v34, v35
	v_mul_hi_u32 v34, 0xbc8f1391, v35
	s_delay_alu instid0(VALU_DEP_1) | instskip(NEXT) | instid1(VALU_DEP_1)
	v_lshrrev_b32_e32 v34, 15, v34
	v_mul_u32_u24_e32 v36, 0xadc8, v34
	v_mul_u32_u24_e32 v34, 0xd47, v34
	s_delay_alu instid0(VALU_DEP_2) | instskip(NEXT) | instid1(VALU_DEP_2)
	v_sub_nc_u32_e32 v36, v35, v36
	v_xor_b32_e32 v37, 0x7fffffff, v34
	s_delay_alu instid0(VALU_DEP_2) | instskip(SKIP_1) | instid1(VALU_DEP_2)
	v_mul_lo_u32 v36, 0xbc8f, v36
	v_sub_nc_u32_e32 v38, 0, v34
	v_cmp_lt_u32_e32 vcc_lo, v36, v34
	s_delay_alu instid0(VALU_DEP_2) | instskip(NEXT) | instid1(VALU_DEP_1)
	v_dual_cndmask_b32 v34, v38, v37, vcc_lo :: v_dual_add_f32 v38, 1.0, v6
	v_add_nc_u32_e32 v36, v34, v36
	s_delay_alu instid0(VALU_DEP_1) | instskip(NEXT) | instid1(VALU_DEP_1)
	v_mul_hi_u32 v34, 0xbc8f1391, v36
	v_lshrrev_b32_e32 v34, 15, v34
	s_delay_alu instid0(VALU_DEP_1) | instskip(SKIP_2) | instid1(VALU_DEP_3)
	v_mul_u32_u24_e32 v37, 0xadc8, v34
	v_mul_u32_u24_e32 v39, 0xd47, v34
	v_cvt_f32_u32_e32 v34, v33
	v_sub_nc_u32_e32 v37, v36, v37
	s_delay_alu instid0(VALU_DEP_3) | instskip(SKIP_1) | instid1(VALU_DEP_3)
	v_xor_b32_e32 v33, 0x7fffffff, v39
	v_dual_sub_nc_u32 v40, 0, v39 :: v_dual_add_nc_u32 v36, -1, v36
	v_mul_lo_u32 v37, 0xbc8f, v37
	s_delay_alu instid0(VALU_DEP_2) | instskip(NEXT) | instid1(VALU_DEP_2)
	v_cvt_f32_u32_e32 v36, v36
	v_cmp_lt_u32_e32 vcc_lo, v37, v39
	s_delay_alu instid0(VALU_DEP_4) | instskip(NEXT) | instid1(VALU_DEP_1)
	v_dual_add_nc_u32 v35, -1, v35 :: v_dual_cndmask_b32 v33, v40, v33, vcc_lo
	v_cvt_f32_u32_e32 v35, v35
	s_delay_alu instid0(VALU_DEP_2) | instskip(NEXT) | instid1(VALU_DEP_2)
	v_add_nc_u32_e32 v33, v33, v37
	v_pk_fma_f32 v[34:35], v[34:35], s[8:9], 0 op_sel_hi:[1,0,0]
	s_delay_alu instid0(VALU_DEP_1) | instskip(NEXT) | instid1(VALU_DEP_1)
	v_pk_mul_f32 v[34:35], v[34:35], v[34:35]
	v_dual_add_nc_u32 v37, -1, v33 :: v_dual_add_f32 v39, v34, v35
	s_delay_alu instid0(VALU_DEP_1) | instskip(NEXT) | instid1(VALU_DEP_2)
	v_cvt_f32_u32_e32 v37, v37
	v_cmp_gt_f32_e32 vcc_lo, 0xf800000, v39
	s_delay_alu instid0(VALU_DEP_2) | instskip(NEXT) | instid1(VALU_DEP_1)
	v_pk_fma_f32 v[34:35], v[36:37], s[8:9], 0 op_sel_hi:[1,0,0]
	v_pk_mul_f32 v[34:35], v[34:35], v[34:35]
	s_delay_alu instid0(VALU_DEP_1) | instskip(NEXT) | instid1(VALU_DEP_1)
	v_add_f32_e32 v34, v34, v35
	v_dual_mul_f32 v36, 0x4f800000, v39 :: v_dual_mul_f32 v37, 0x4f800000, v34
	s_delay_alu instid0(VALU_DEP_1) | instskip(SKIP_1) | instid1(VALU_DEP_2)
	v_cndmask_b32_e32 v36, v39, v36, vcc_lo
	v_cmp_gt_f32_e64 s6, 0xf800000, v34
	v_sqrt_f32_e32 v35, v36
	v_nop
	s_delay_alu instid0(TRANS32_DEP_1) | instskip(NEXT) | instid1(VALU_DEP_1)
	v_dual_add_nc_u32 v39, -1, v35 :: v_dual_cndmask_b32 v34, v34, v37, s6
	v_dual_add_nc_u32 v37, 1, v35 :: v_dual_fma_f32 v40, -v39, v35, v36
	s_delay_alu instid0(VALU_DEP_2) | instskip(NEXT) | instid1(VALU_DEP_1)
	v_sqrt_f32_e32 v41, v34
	v_fma_f32 v42, -v37, v35, v36
	s_delay_alu instid0(VALU_DEP_2)
	v_cmp_ge_f32_e64 s7, 0, v40
	s_delay_alu instid0(TRANS32_DEP_1) | instid1(VALU_DEP_1)
	v_dual_cndmask_b32 v35, v35, v39, s7 :: v_dual_add_nc_u32 v39, -1, v41
	s_delay_alu instid0(VALU_DEP_3) | instskip(NEXT) | instid1(VALU_DEP_1)
	v_cmp_lt_f32_e64 s7, 0, v42
	v_cndmask_b32_e64 v35, v35, v37, s7
	s_delay_alu instid0(VALU_DEP_3) | instskip(NEXT) | instid1(VALU_DEP_1)
	v_dual_add_nc_u32 v37, 1, v41 :: v_dual_fma_f32 v40, -v39, v41, v34
	v_fma_f32 v43, -v37, v41, v34
	s_delay_alu instid0(VALU_DEP_2) | instskip(NEXT) | instid1(VALU_DEP_1)
	v_cmp_ge_f32_e64 s7, 0, v40
	v_cndmask_b32_e64 v39, v41, v39, s7
	v_mul_f32_e32 v42, 0x37800000, v35
	s_delay_alu instid0(VALU_DEP_4) | instskip(NEXT) | instid1(VALU_DEP_1)
	v_cmp_lt_f32_e64 s7, 0, v43
	v_cndmask_b32_e64 v37, v39, v37, s7
	s_delay_alu instid0(VALU_DEP_3) | instskip(SKIP_1) | instid1(VALU_DEP_2)
	v_cndmask_b32_e32 v35, v35, v42, vcc_lo
	v_cmp_class_f32_e64 vcc_lo, v36, 0x260
	v_cndmask_b32_e32 v35, v35, v36, vcc_lo
	s_delay_alu instid0(VALU_DEP_1) | instskip(SKIP_3) | instid1(VALU_DEP_2)
	v_cmp_nge_f32_e32 vcc_lo, 1.0, v35
	v_cndmask_b32_e32 v6, v38, v6, vcc_lo
	v_mul_f32_e32 v36, 0x37800000, v37
	v_cmp_class_f32_e64 vcc_lo, v34, 0x260
	v_dual_cndmask_b32 v35, v37, v36, s6 :: v_dual_add_f32 v36, 1.0, v6
	s_delay_alu instid0(VALU_DEP_1) | instskip(NEXT) | instid1(VALU_DEP_1)
	v_cndmask_b32_e32 v34, v35, v34, vcc_lo
	v_cmp_nge_f32_e32 vcc_lo, 1.0, v34
	s_delay_alu instid0(VALU_DEP_3)
	v_cndmask_b32_e32 v6, v36, v6, vcc_lo
	s_cbranch_scc1 .LBB27_138
; %bb.139:
	s_delay_alu instid0(VALU_DEP_1) | instskip(NEXT) | instid1(VALU_DEP_1)
	v_mul_f32_e32 v6, 4.0, v6
	v_div_scale_f32 v33, null, 0x461c4000, 0x461c4000, v6
	s_delay_alu instid0(VALU_DEP_1) | instskip(SKIP_1) | instid1(TRANS32_DEP_1)
	v_rcp_f32_e32 v34, v33
	v_nop
	v_fma_f32 v35, -v33, v34, 1.0
	s_delay_alu instid0(VALU_DEP_1) | instskip(SKIP_1) | instid1(VALU_DEP_1)
	v_fmac_f32_e32 v34, v35, v34
	v_div_scale_f32 v35, vcc_lo, v6, 0x461c4000, v6
	v_mul_f32_e32 v36, v35, v34
	s_delay_alu instid0(VALU_DEP_1) | instskip(NEXT) | instid1(VALU_DEP_1)
	v_fma_f32 v37, -v33, v36, v35
	v_fmac_f32_e32 v36, v37, v34
	s_delay_alu instid0(VALU_DEP_1) | instskip(NEXT) | instid1(VALU_DEP_1)
	v_fma_f32 v33, -v33, v36, v35
	v_div_fmas_f32 v33, v33, v34, v36
	s_delay_alu instid0(VALU_DEP_1)
	v_div_fixup_f32 v6, v33, 0x461c4000, v6
.LBB27_140:
	s_or_b32 exec_lo, exec_lo, s9
	v_or_b32_e32 v33, 0x500, v0
	s_delay_alu instid0(VALU_DEP_1)
	v_cmp_gt_u32_e64 s6, s46, v33
	s_and_saveexec_b32 s9, s6
	s_cbranch_execz .LBB27_144
; %bb.141:
	v_add_nc_u32_e32 v5, s35, v33
	s_movk_i32 s11, 0x2710
	s_brev_b32 s10, 12
	s_delay_alu instid0(VALU_DEP_1) | instskip(NEXT) | instid1(VALU_DEP_1)
	v_lshlrev_b32_e32 v33, 12, v5
	v_add3_u32 v5, v5, v33, 0x7ed55d16
	s_delay_alu instid0(VALU_DEP_1) | instskip(NEXT) | instid1(VALU_DEP_1)
	v_lshrrev_b32_e32 v33, 19, v5
	v_xor3_b32 v5, v5, v33, 0xc761c23c
	s_delay_alu instid0(VALU_DEP_1) | instskip(NEXT) | instid1(VALU_DEP_1)
	v_lshl_add_u32 v5, v5, 5, v5
	v_add_nc_u32_e32 v33, 0xe9f8cc1d, v5
	v_lshl_add_u32 v5, v5, 9, 0xaccf6200
	s_delay_alu instid0(VALU_DEP_1) | instskip(NEXT) | instid1(VALU_DEP_1)
	v_xor_b32_e32 v5, v33, v5
	v_lshlrev_b32_e32 v33, 3, v5
	s_delay_alu instid0(VALU_DEP_1) | instskip(NEXT) | instid1(VALU_DEP_1)
	v_add3_u32 v5, v5, v33, 0xfd7046c5
	v_lshrrev_b32_e32 v33, 16, v5
	s_delay_alu instid0(VALU_DEP_1) | instskip(NEXT) | instid1(VALU_DEP_1)
	v_xor3_b32 v5, v5, v33, 0xb55a4f09
	v_mul_hi_u32 v33, v5, 3
	s_delay_alu instid0(VALU_DEP_1) | instskip(NEXT) | instid1(VALU_DEP_1)
	v_sub_nc_u32_e32 v34, v5, v33
	v_lshrrev_b32_e32 v34, 1, v34
	s_delay_alu instid0(VALU_DEP_1) | instskip(NEXT) | instid1(VALU_DEP_1)
	v_add_nc_u32_e32 v33, v34, v33
	v_lshrrev_b32_e32 v33, 30, v33
	s_delay_alu instid0(VALU_DEP_1) | instskip(NEXT) | instid1(VALU_DEP_1)
	v_mul_lo_u32 v33, 0x7fffffff, v33
	v_sub_nc_u32_e32 v5, v5, v33
	s_delay_alu instid0(VALU_DEP_1)
	v_max_u32_e32 v33, 1, v5
	v_mov_b32_e32 v5, 0
.LBB27_142:                             ; =>This Inner Loop Header: Depth=1
	s_delay_alu instid0(VALU_DEP_2) | instskip(NEXT) | instid1(VALU_DEP_1)
	v_mul_hi_u32 v34, 0xbc8f1391, v33
	v_lshrrev_b32_e32 v34, 15, v34
	s_delay_alu instid0(VALU_DEP_1) | instskip(NEXT) | instid1(VALU_DEP_1)
	v_mul_u32_u24_e32 v35, 0xadc8, v34
	v_sub_nc_u32_e32 v33, v33, v35
	v_mul_u32_u24_e32 v34, 0xd47, v34
	s_delay_alu instid0(VALU_DEP_2) | instskip(NEXT) | instid1(VALU_DEP_2)
	v_mul_lo_u32 v33, 0xbc8f, v33
	v_xor_b32_e32 v35, 0x7fffffff, v34
	v_sub_nc_u32_e32 v36, 0, v34
	s_delay_alu instid0(VALU_DEP_3) | instskip(NEXT) | instid1(VALU_DEP_2)
	v_cmp_lt_u32_e32 vcc_lo, v33, v34
	v_cndmask_b32_e32 v34, v36, v35, vcc_lo
	s_delay_alu instid0(VALU_DEP_1) | instskip(NEXT) | instid1(VALU_DEP_1)
	v_add_nc_u32_e32 v33, v34, v33
	v_mul_hi_u32 v34, 0xbc8f1391, v33
	s_delay_alu instid0(VALU_DEP_1) | instskip(NEXT) | instid1(VALU_DEP_1)
	v_lshrrev_b32_e32 v34, 15, v34
	v_mul_u32_u24_e32 v35, 0xadc8, v34
	v_mul_u32_u24_e32 v34, 0xd47, v34
	s_delay_alu instid0(VALU_DEP_2) | instskip(NEXT) | instid1(VALU_DEP_2)
	v_sub_nc_u32_e32 v35, v33, v35
	v_xor_b32_e32 v36, 0x7fffffff, v34
	v_add_nc_u32_e32 v33, -1, v33
	s_delay_alu instid0(VALU_DEP_3) | instskip(SKIP_1) | instid1(VALU_DEP_2)
	v_mul_lo_u32 v35, 0xbc8f, v35
	v_sub_nc_u32_e32 v37, 0, v34
	v_cmp_lt_u32_e32 vcc_lo, v35, v34
	s_delay_alu instid0(VALU_DEP_2) | instskip(NEXT) | instid1(VALU_DEP_1)
	v_cndmask_b32_e32 v34, v37, v36, vcc_lo
	v_add_nc_u32_e32 v35, v34, v35
	s_delay_alu instid0(VALU_DEP_1) | instskip(NEXT) | instid1(VALU_DEP_1)
	v_mul_hi_u32 v34, 0xbc8f1391, v35
	v_lshrrev_b32_e32 v34, 15, v34
	s_delay_alu instid0(VALU_DEP_1) | instskip(SKIP_1) | instid1(VALU_DEP_2)
	v_mul_u32_u24_e32 v36, 0xadc8, v34
	v_mul_u32_u24_e32 v34, 0xd47, v34
	v_sub_nc_u32_e32 v36, v35, v36
	s_delay_alu instid0(VALU_DEP_2) | instskip(NEXT) | instid1(VALU_DEP_2)
	v_xor_b32_e32 v37, 0x7fffffff, v34
	v_mul_lo_u32 v36, 0xbc8f, v36
	v_sub_nc_u32_e32 v38, 0, v34
	s_delay_alu instid0(VALU_DEP_2) | instskip(NEXT) | instid1(VALU_DEP_2)
	v_cmp_lt_u32_e32 vcc_lo, v36, v34
	v_cndmask_b32_e32 v34, v38, v37, vcc_lo
	s_delay_alu instid0(VALU_DEP_1) | instskip(NEXT) | instid1(VALU_DEP_1)
	v_dual_add_f32 v38, 1.0, v5 :: v_dual_add_nc_u32 v36, v34, v36
	v_mul_hi_u32 v34, 0xbc8f1391, v36
	s_delay_alu instid0(VALU_DEP_1) | instskip(NEXT) | instid1(VALU_DEP_1)
	v_lshrrev_b32_e32 v34, 15, v34
	v_mul_u32_u24_e32 v37, 0xadc8, v34
	v_mul_u32_u24_e32 v39, 0xd47, v34
	v_cvt_f32_u32_e32 v34, v33
	s_delay_alu instid0(VALU_DEP_3) | instskip(NEXT) | instid1(VALU_DEP_3)
	v_sub_nc_u32_e32 v37, v36, v37
	v_xor_b32_e32 v33, 0x7fffffff, v39
	v_dual_sub_nc_u32 v40, 0, v39 :: v_dual_add_nc_u32 v36, -1, v36
	s_delay_alu instid0(VALU_DEP_3) | instskip(NEXT) | instid1(VALU_DEP_2)
	v_mul_lo_u32 v37, 0xbc8f, v37
	v_cvt_f32_u32_e32 v36, v36
	s_delay_alu instid0(VALU_DEP_2) | instskip(NEXT) | instid1(VALU_DEP_4)
	v_cmp_lt_u32_e32 vcc_lo, v37, v39
	v_dual_add_nc_u32 v35, -1, v35 :: v_dual_cndmask_b32 v33, v40, v33, vcc_lo
	s_delay_alu instid0(VALU_DEP_1) | instskip(NEXT) | instid1(VALU_DEP_2)
	v_cvt_f32_u32_e32 v35, v35
	v_add_nc_u32_e32 v33, v33, v37
	s_delay_alu instid0(VALU_DEP_2) | instskip(NEXT) | instid1(VALU_DEP_1)
	v_pk_fma_f32 v[34:35], v[34:35], s[10:11], 0 op_sel_hi:[1,0,0]
	v_pk_mul_f32 v[34:35], v[34:35], v[34:35]
	s_delay_alu instid0(VALU_DEP_1) | instskip(NEXT) | instid1(VALU_DEP_1)
	v_dual_add_nc_u32 v37, -1, v33 :: v_dual_add_f32 v39, v34, v35
	v_cvt_f32_u32_e32 v37, v37
	s_delay_alu instid0(VALU_DEP_2) | instskip(NEXT) | instid1(VALU_DEP_2)
	v_cmp_gt_f32_e32 vcc_lo, 0xf800000, v39
	v_pk_fma_f32 v[34:35], v[36:37], s[10:11], 0 op_sel_hi:[1,0,0]
	s_add_co_i32 s11, s11, -2
	s_delay_alu instid0(SALU_CYCLE_1) | instskip(NEXT) | instid1(VALU_DEP_1)
	s_cmp_lg_u32 s11, 0
	v_pk_mul_f32 v[34:35], v[34:35], v[34:35]
	s_delay_alu instid0(VALU_DEP_1) | instskip(NEXT) | instid1(VALU_DEP_1)
	v_add_f32_e32 v34, v34, v35
	v_dual_mul_f32 v36, 0x4f800000, v39 :: v_dual_mul_f32 v37, 0x4f800000, v34
	s_delay_alu instid0(VALU_DEP_1) | instskip(SKIP_1) | instid1(VALU_DEP_2)
	v_cndmask_b32_e32 v36, v39, v36, vcc_lo
	v_cmp_gt_f32_e64 s7, 0xf800000, v34
	v_sqrt_f32_e32 v35, v36
	v_nop
	s_delay_alu instid0(TRANS32_DEP_1) | instskip(NEXT) | instid1(VALU_DEP_1)
	v_dual_add_nc_u32 v39, -1, v35 :: v_dual_cndmask_b32 v34, v34, v37, s7
	v_dual_add_nc_u32 v37, 1, v35 :: v_dual_fma_f32 v40, -v39, v35, v36
	s_delay_alu instid0(VALU_DEP_2) | instskip(NEXT) | instid1(VALU_DEP_1)
	v_sqrt_f32_e32 v41, v34
	v_fma_f32 v42, -v37, v35, v36
	s_delay_alu instid0(VALU_DEP_2)
	v_cmp_ge_f32_e64 s8, 0, v40
	s_delay_alu instid0(TRANS32_DEP_1) | instid1(VALU_DEP_1)
	v_dual_cndmask_b32 v35, v35, v39, s8 :: v_dual_add_nc_u32 v39, -1, v41
	s_delay_alu instid0(VALU_DEP_3) | instskip(NEXT) | instid1(VALU_DEP_1)
	v_cmp_lt_f32_e64 s8, 0, v42
	v_cndmask_b32_e64 v35, v35, v37, s8
	s_delay_alu instid0(VALU_DEP_3) | instskip(NEXT) | instid1(VALU_DEP_1)
	v_dual_add_nc_u32 v37, 1, v41 :: v_dual_fma_f32 v40, -v39, v41, v34
	v_fma_f32 v43, -v37, v41, v34
	s_delay_alu instid0(VALU_DEP_2) | instskip(NEXT) | instid1(VALU_DEP_1)
	v_cmp_ge_f32_e64 s8, 0, v40
	v_cndmask_b32_e64 v39, v41, v39, s8
	v_mul_f32_e32 v42, 0x37800000, v35
	s_delay_alu instid0(VALU_DEP_4) | instskip(NEXT) | instid1(VALU_DEP_1)
	v_cmp_lt_f32_e64 s8, 0, v43
	v_cndmask_b32_e64 v37, v39, v37, s8
	s_delay_alu instid0(VALU_DEP_3) | instskip(SKIP_1) | instid1(VALU_DEP_2)
	v_cndmask_b32_e32 v35, v35, v42, vcc_lo
	v_cmp_class_f32_e64 vcc_lo, v36, 0x260
	v_dual_cndmask_b32 v35, v35, v36 :: v_dual_mul_f32 v36, 0x37800000, v37
	s_delay_alu instid0(VALU_DEP_1) | instskip(NEXT) | instid1(VALU_DEP_2)
	v_cmp_nge_f32_e32 vcc_lo, 1.0, v35
	v_dual_cndmask_b32 v35, v37, v36, s7 :: v_dual_cndmask_b32 v5, v38, v5, vcc_lo
	v_cmp_class_f32_e64 vcc_lo, v34, 0x260
	s_delay_alu instid0(VALU_DEP_1) | instskip(NEXT) | instid1(VALU_DEP_1)
	v_dual_add_f32 v36, 1.0, v5 :: v_dual_cndmask_b32 v34, v35, v34, vcc_lo
	v_cmp_nge_f32_e32 vcc_lo, 1.0, v34
	s_delay_alu instid0(VALU_DEP_2)
	v_cndmask_b32_e32 v5, v36, v5, vcc_lo
	s_cbranch_scc1 .LBB27_142
; %bb.143:
	s_delay_alu instid0(VALU_DEP_1) | instskip(NEXT) | instid1(VALU_DEP_1)
	v_mul_f32_e32 v5, 4.0, v5
	v_div_scale_f32 v33, null, 0x461c4000, 0x461c4000, v5
	s_delay_alu instid0(VALU_DEP_1) | instskip(SKIP_1) | instid1(TRANS32_DEP_1)
	v_rcp_f32_e32 v34, v33
	v_nop
	v_fma_f32 v35, -v33, v34, 1.0
	s_delay_alu instid0(VALU_DEP_1) | instskip(SKIP_1) | instid1(VALU_DEP_1)
	v_fmac_f32_e32 v34, v35, v34
	v_div_scale_f32 v35, vcc_lo, v5, 0x461c4000, v5
	v_mul_f32_e32 v36, v35, v34
	s_delay_alu instid0(VALU_DEP_1) | instskip(NEXT) | instid1(VALU_DEP_1)
	v_fma_f32 v37, -v33, v36, v35
	v_fmac_f32_e32 v36, v37, v34
	s_delay_alu instid0(VALU_DEP_1) | instskip(NEXT) | instid1(VALU_DEP_1)
	v_fma_f32 v33, -v33, v36, v35
	v_div_fmas_f32 v33, v33, v34, v36
	s_delay_alu instid0(VALU_DEP_1)
	v_div_fixup_f32 v5, v33, 0x461c4000, v5
.LBB27_144:
	s_or_b32 exec_lo, exec_lo, s9
	v_or_b32_e32 v33, 0x600, v0
	s_delay_alu instid0(VALU_DEP_1)
	v_cmp_gt_u32_e64 s7, s46, v33
	s_and_saveexec_b32 s11, s7
	s_cbranch_execz .LBB27_148
; %bb.145:
	v_add_nc_u32_e32 v8, s35, v33
	s_movk_i32 s12, 0x2710
	s_brev_b32 s10, 12
	s_delay_alu instid0(VALU_DEP_1) | instskip(NEXT) | instid1(VALU_DEP_1)
	v_lshlrev_b32_e32 v33, 12, v8
	v_add3_u32 v8, v8, v33, 0x7ed55d16
	s_delay_alu instid0(VALU_DEP_1) | instskip(NEXT) | instid1(VALU_DEP_1)
	v_lshrrev_b32_e32 v33, 19, v8
	v_xor3_b32 v8, v8, v33, 0xc761c23c
	s_delay_alu instid0(VALU_DEP_1) | instskip(NEXT) | instid1(VALU_DEP_1)
	v_lshl_add_u32 v8, v8, 5, v8
	v_add_nc_u32_e32 v33, 0xe9f8cc1d, v8
	v_lshl_add_u32 v8, v8, 9, 0xaccf6200
	s_delay_alu instid0(VALU_DEP_1) | instskip(NEXT) | instid1(VALU_DEP_1)
	v_xor_b32_e32 v8, v33, v8
	v_lshlrev_b32_e32 v33, 3, v8
	s_delay_alu instid0(VALU_DEP_1) | instskip(NEXT) | instid1(VALU_DEP_1)
	v_add3_u32 v8, v8, v33, 0xfd7046c5
	v_lshrrev_b32_e32 v33, 16, v8
	s_delay_alu instid0(VALU_DEP_1) | instskip(NEXT) | instid1(VALU_DEP_1)
	v_xor3_b32 v8, v8, v33, 0xb55a4f09
	v_mul_hi_u32 v33, v8, 3
	s_delay_alu instid0(VALU_DEP_1) | instskip(NEXT) | instid1(VALU_DEP_1)
	v_sub_nc_u32_e32 v34, v8, v33
	v_lshrrev_b32_e32 v34, 1, v34
	s_delay_alu instid0(VALU_DEP_1) | instskip(NEXT) | instid1(VALU_DEP_1)
	v_add_nc_u32_e32 v33, v34, v33
	v_lshrrev_b32_e32 v33, 30, v33
	s_delay_alu instid0(VALU_DEP_1) | instskip(NEXT) | instid1(VALU_DEP_1)
	v_mul_lo_u32 v33, 0x7fffffff, v33
	v_sub_nc_u32_e32 v8, v8, v33
	s_delay_alu instid0(VALU_DEP_1)
	v_max_u32_e32 v33, 1, v8
	v_mov_b32_e32 v8, 0
.LBB27_146:                             ; =>This Inner Loop Header: Depth=1
	s_delay_alu instid0(VALU_DEP_2) | instskip(SKIP_1) | instid1(SALU_CYCLE_1)
	v_mul_hi_u32 v34, 0xbc8f1391, v33
	s_add_co_i32 s12, s12, -2
	s_cmp_lg_u32 s12, 0
	s_delay_alu instid0(VALU_DEP_1) | instskip(NEXT) | instid1(VALU_DEP_1)
	v_lshrrev_b32_e32 v34, 15, v34
	v_mul_u32_u24_e32 v35, 0xadc8, v34
	s_delay_alu instid0(VALU_DEP_1) | instskip(SKIP_1) | instid1(VALU_DEP_2)
	v_sub_nc_u32_e32 v33, v33, v35
	v_mul_u32_u24_e32 v34, 0xd47, v34
	v_mul_lo_u32 v33, 0xbc8f, v33
	s_delay_alu instid0(VALU_DEP_2) | instskip(SKIP_1) | instid1(VALU_DEP_3)
	v_xor_b32_e32 v35, 0x7fffffff, v34
	v_sub_nc_u32_e32 v36, 0, v34
	v_cmp_lt_u32_e32 vcc_lo, v33, v34
	s_delay_alu instid0(VALU_DEP_2) | instskip(NEXT) | instid1(VALU_DEP_1)
	v_cndmask_b32_e32 v34, v36, v35, vcc_lo
	v_add_nc_u32_e32 v33, v34, v33
	s_delay_alu instid0(VALU_DEP_1) | instskip(NEXT) | instid1(VALU_DEP_1)
	v_mul_hi_u32 v34, 0xbc8f1391, v33
	v_lshrrev_b32_e32 v34, 15, v34
	s_delay_alu instid0(VALU_DEP_1) | instskip(SKIP_1) | instid1(VALU_DEP_2)
	v_mul_u32_u24_e32 v35, 0xadc8, v34
	v_mul_u32_u24_e32 v34, 0xd47, v34
	v_sub_nc_u32_e32 v35, v33, v35
	s_delay_alu instid0(VALU_DEP_2) | instskip(SKIP_1) | instid1(VALU_DEP_3)
	v_xor_b32_e32 v36, 0x7fffffff, v34
	v_add_nc_u32_e32 v33, -1, v33
	v_mul_lo_u32 v35, 0xbc8f, v35
	v_sub_nc_u32_e32 v37, 0, v34
	s_delay_alu instid0(VALU_DEP_2) | instskip(NEXT) | instid1(VALU_DEP_2)
	v_cmp_lt_u32_e32 vcc_lo, v35, v34
	v_cndmask_b32_e32 v34, v37, v36, vcc_lo
	s_delay_alu instid0(VALU_DEP_1) | instskip(NEXT) | instid1(VALU_DEP_1)
	v_add_nc_u32_e32 v35, v34, v35
	v_mul_hi_u32 v34, 0xbc8f1391, v35
	s_delay_alu instid0(VALU_DEP_1) | instskip(NEXT) | instid1(VALU_DEP_1)
	v_lshrrev_b32_e32 v34, 15, v34
	v_mul_u32_u24_e32 v36, 0xadc8, v34
	v_mul_u32_u24_e32 v34, 0xd47, v34
	s_delay_alu instid0(VALU_DEP_2) | instskip(NEXT) | instid1(VALU_DEP_2)
	v_sub_nc_u32_e32 v36, v35, v36
	v_xor_b32_e32 v37, 0x7fffffff, v34
	s_delay_alu instid0(VALU_DEP_2) | instskip(SKIP_1) | instid1(VALU_DEP_2)
	v_mul_lo_u32 v36, 0xbc8f, v36
	v_sub_nc_u32_e32 v38, 0, v34
	v_cmp_lt_u32_e32 vcc_lo, v36, v34
	s_delay_alu instid0(VALU_DEP_2) | instskip(NEXT) | instid1(VALU_DEP_1)
	v_dual_cndmask_b32 v34, v38, v37, vcc_lo :: v_dual_add_f32 v38, 1.0, v8
	v_add_nc_u32_e32 v36, v34, v36
	s_delay_alu instid0(VALU_DEP_1) | instskip(NEXT) | instid1(VALU_DEP_1)
	v_mul_hi_u32 v34, 0xbc8f1391, v36
	v_lshrrev_b32_e32 v34, 15, v34
	s_delay_alu instid0(VALU_DEP_1) | instskip(SKIP_2) | instid1(VALU_DEP_3)
	v_mul_u32_u24_e32 v37, 0xadc8, v34
	v_mul_u32_u24_e32 v39, 0xd47, v34
	v_cvt_f32_u32_e32 v34, v33
	v_sub_nc_u32_e32 v37, v36, v37
	s_delay_alu instid0(VALU_DEP_3) | instskip(SKIP_1) | instid1(VALU_DEP_3)
	v_xor_b32_e32 v33, 0x7fffffff, v39
	v_dual_sub_nc_u32 v40, 0, v39 :: v_dual_add_nc_u32 v36, -1, v36
	v_mul_lo_u32 v37, 0xbc8f, v37
	s_delay_alu instid0(VALU_DEP_2) | instskip(NEXT) | instid1(VALU_DEP_2)
	v_cvt_f32_u32_e32 v36, v36
	v_cmp_lt_u32_e32 vcc_lo, v37, v39
	s_delay_alu instid0(VALU_DEP_4) | instskip(NEXT) | instid1(VALU_DEP_1)
	v_dual_add_nc_u32 v35, -1, v35 :: v_dual_cndmask_b32 v33, v40, v33, vcc_lo
	v_cvt_f32_u32_e32 v35, v35
	s_delay_alu instid0(VALU_DEP_2) | instskip(NEXT) | instid1(VALU_DEP_2)
	v_add_nc_u32_e32 v33, v33, v37
	v_pk_fma_f32 v[34:35], v[34:35], s[10:11], 0 op_sel_hi:[1,0,0]
	s_delay_alu instid0(VALU_DEP_1) | instskip(NEXT) | instid1(VALU_DEP_1)
	v_pk_mul_f32 v[34:35], v[34:35], v[34:35]
	v_dual_add_nc_u32 v37, -1, v33 :: v_dual_add_f32 v39, v34, v35
	s_delay_alu instid0(VALU_DEP_1) | instskip(NEXT) | instid1(VALU_DEP_2)
	v_cvt_f32_u32_e32 v37, v37
	v_cmp_gt_f32_e32 vcc_lo, 0xf800000, v39
	s_delay_alu instid0(VALU_DEP_2) | instskip(NEXT) | instid1(VALU_DEP_1)
	v_pk_fma_f32 v[34:35], v[36:37], s[10:11], 0 op_sel_hi:[1,0,0]
	v_pk_mul_f32 v[34:35], v[34:35], v[34:35]
	s_delay_alu instid0(VALU_DEP_1) | instskip(NEXT) | instid1(VALU_DEP_1)
	v_add_f32_e32 v34, v34, v35
	v_dual_mul_f32 v36, 0x4f800000, v39 :: v_dual_mul_f32 v37, 0x4f800000, v34
	s_delay_alu instid0(VALU_DEP_1) | instskip(SKIP_1) | instid1(VALU_DEP_2)
	v_cndmask_b32_e32 v36, v39, v36, vcc_lo
	v_cmp_gt_f32_e64 s8, 0xf800000, v34
	v_sqrt_f32_e32 v35, v36
	v_nop
	s_delay_alu instid0(TRANS32_DEP_1) | instskip(NEXT) | instid1(VALU_DEP_1)
	v_dual_add_nc_u32 v39, -1, v35 :: v_dual_cndmask_b32 v34, v34, v37, s8
	v_dual_add_nc_u32 v37, 1, v35 :: v_dual_fma_f32 v40, -v39, v35, v36
	s_delay_alu instid0(VALU_DEP_2) | instskip(NEXT) | instid1(VALU_DEP_1)
	v_sqrt_f32_e32 v41, v34
	v_fma_f32 v42, -v37, v35, v36
	s_delay_alu instid0(VALU_DEP_2)
	v_cmp_ge_f32_e64 s9, 0, v40
	s_delay_alu instid0(TRANS32_DEP_1) | instid1(VALU_DEP_1)
	v_dual_cndmask_b32 v35, v35, v39, s9 :: v_dual_add_nc_u32 v39, -1, v41
	s_delay_alu instid0(VALU_DEP_3) | instskip(NEXT) | instid1(VALU_DEP_1)
	v_cmp_lt_f32_e64 s9, 0, v42
	v_cndmask_b32_e64 v35, v35, v37, s9
	s_delay_alu instid0(VALU_DEP_3) | instskip(NEXT) | instid1(VALU_DEP_1)
	v_dual_add_nc_u32 v37, 1, v41 :: v_dual_fma_f32 v40, -v39, v41, v34
	v_fma_f32 v43, -v37, v41, v34
	s_delay_alu instid0(VALU_DEP_2) | instskip(NEXT) | instid1(VALU_DEP_1)
	v_cmp_ge_f32_e64 s9, 0, v40
	v_cndmask_b32_e64 v39, v41, v39, s9
	v_mul_f32_e32 v42, 0x37800000, v35
	s_delay_alu instid0(VALU_DEP_4) | instskip(NEXT) | instid1(VALU_DEP_1)
	v_cmp_lt_f32_e64 s9, 0, v43
	v_cndmask_b32_e64 v37, v39, v37, s9
	s_delay_alu instid0(VALU_DEP_3) | instskip(SKIP_1) | instid1(VALU_DEP_2)
	v_cndmask_b32_e32 v35, v35, v42, vcc_lo
	v_cmp_class_f32_e64 vcc_lo, v36, 0x260
	v_cndmask_b32_e32 v35, v35, v36, vcc_lo
	s_delay_alu instid0(VALU_DEP_1) | instskip(SKIP_3) | instid1(VALU_DEP_2)
	v_cmp_nge_f32_e32 vcc_lo, 1.0, v35
	v_cndmask_b32_e32 v8, v38, v8, vcc_lo
	v_mul_f32_e32 v36, 0x37800000, v37
	v_cmp_class_f32_e64 vcc_lo, v34, 0x260
	v_cndmask_b32_e64 v35, v37, v36, s8
	s_delay_alu instid0(VALU_DEP_1) | instskip(NEXT) | instid1(VALU_DEP_1)
	v_dual_add_f32 v36, 1.0, v8 :: v_dual_cndmask_b32 v34, v35, v34, vcc_lo
	v_cmp_nge_f32_e32 vcc_lo, 1.0, v34
	s_delay_alu instid0(VALU_DEP_2)
	v_cndmask_b32_e32 v8, v36, v8, vcc_lo
	s_cbranch_scc1 .LBB27_146
; %bb.147:
	s_delay_alu instid0(VALU_DEP_1) | instskip(NEXT) | instid1(VALU_DEP_1)
	v_mul_f32_e32 v8, 4.0, v8
	v_div_scale_f32 v33, null, 0x461c4000, 0x461c4000, v8
	s_delay_alu instid0(VALU_DEP_1) | instskip(SKIP_1) | instid1(TRANS32_DEP_1)
	v_rcp_f32_e32 v34, v33
	v_nop
	v_fma_f32 v35, -v33, v34, 1.0
	s_delay_alu instid0(VALU_DEP_1) | instskip(SKIP_1) | instid1(VALU_DEP_1)
	v_fmac_f32_e32 v34, v35, v34
	v_div_scale_f32 v35, vcc_lo, v8, 0x461c4000, v8
	v_mul_f32_e32 v36, v35, v34
	s_delay_alu instid0(VALU_DEP_1) | instskip(NEXT) | instid1(VALU_DEP_1)
	v_fma_f32 v37, -v33, v36, v35
	v_fmac_f32_e32 v36, v37, v34
	s_delay_alu instid0(VALU_DEP_1) | instskip(NEXT) | instid1(VALU_DEP_1)
	v_fma_f32 v33, -v33, v36, v35
	v_div_fmas_f32 v33, v33, v34, v36
	s_delay_alu instid0(VALU_DEP_1)
	v_div_fixup_f32 v8, v33, 0x461c4000, v8
.LBB27_148:
	s_or_b32 exec_lo, exec_lo, s11
	v_or_b32_e32 v33, 0x700, v0
	s_delay_alu instid0(VALU_DEP_1)
	v_cmp_gt_u32_e64 s8, s46, v33
	s_and_saveexec_b32 s11, s8
	s_cbranch_execz .LBB27_152
; %bb.149:
	v_add_nc_u32_e32 v7, s35, v33
	s_movk_i32 s13, 0x2710
	s_brev_b32 s12, 12
	s_delay_alu instid0(VALU_DEP_1) | instskip(NEXT) | instid1(VALU_DEP_1)
	v_lshlrev_b32_e32 v33, 12, v7
	v_add3_u32 v7, v7, v33, 0x7ed55d16
	s_delay_alu instid0(VALU_DEP_1) | instskip(NEXT) | instid1(VALU_DEP_1)
	v_lshrrev_b32_e32 v33, 19, v7
	v_xor3_b32 v7, v7, v33, 0xc761c23c
	s_delay_alu instid0(VALU_DEP_1) | instskip(NEXT) | instid1(VALU_DEP_1)
	v_lshl_add_u32 v7, v7, 5, v7
	v_add_nc_u32_e32 v33, 0xe9f8cc1d, v7
	v_lshl_add_u32 v7, v7, 9, 0xaccf6200
	s_delay_alu instid0(VALU_DEP_1) | instskip(NEXT) | instid1(VALU_DEP_1)
	v_xor_b32_e32 v7, v33, v7
	v_lshlrev_b32_e32 v33, 3, v7
	s_delay_alu instid0(VALU_DEP_1) | instskip(NEXT) | instid1(VALU_DEP_1)
	v_add3_u32 v7, v7, v33, 0xfd7046c5
	v_lshrrev_b32_e32 v33, 16, v7
	s_delay_alu instid0(VALU_DEP_1) | instskip(NEXT) | instid1(VALU_DEP_1)
	v_xor3_b32 v7, v7, v33, 0xb55a4f09
	v_mul_hi_u32 v33, v7, 3
	s_delay_alu instid0(VALU_DEP_1) | instskip(NEXT) | instid1(VALU_DEP_1)
	v_sub_nc_u32_e32 v34, v7, v33
	v_lshrrev_b32_e32 v34, 1, v34
	s_delay_alu instid0(VALU_DEP_1) | instskip(NEXT) | instid1(VALU_DEP_1)
	v_add_nc_u32_e32 v33, v34, v33
	v_lshrrev_b32_e32 v33, 30, v33
	s_delay_alu instid0(VALU_DEP_1) | instskip(NEXT) | instid1(VALU_DEP_1)
	v_mul_lo_u32 v33, 0x7fffffff, v33
	v_sub_nc_u32_e32 v7, v7, v33
	s_delay_alu instid0(VALU_DEP_1)
	v_max_u32_e32 v33, 1, v7
	v_mov_b32_e32 v7, 0
.LBB27_150:                             ; =>This Inner Loop Header: Depth=1
	s_delay_alu instid0(VALU_DEP_2) | instskip(NEXT) | instid1(VALU_DEP_1)
	v_mul_hi_u32 v34, 0xbc8f1391, v33
	v_lshrrev_b32_e32 v34, 15, v34
	s_delay_alu instid0(VALU_DEP_1) | instskip(NEXT) | instid1(VALU_DEP_1)
	v_mul_u32_u24_e32 v35, 0xadc8, v34
	v_sub_nc_u32_e32 v33, v33, v35
	v_mul_u32_u24_e32 v34, 0xd47, v34
	s_delay_alu instid0(VALU_DEP_2) | instskip(NEXT) | instid1(VALU_DEP_2)
	v_mul_lo_u32 v33, 0xbc8f, v33
	v_xor_b32_e32 v35, 0x7fffffff, v34
	v_sub_nc_u32_e32 v36, 0, v34
	s_delay_alu instid0(VALU_DEP_3) | instskip(NEXT) | instid1(VALU_DEP_2)
	v_cmp_lt_u32_e32 vcc_lo, v33, v34
	v_cndmask_b32_e32 v34, v36, v35, vcc_lo
	s_delay_alu instid0(VALU_DEP_1) | instskip(NEXT) | instid1(VALU_DEP_1)
	v_add_nc_u32_e32 v33, v34, v33
	v_mul_hi_u32 v34, 0xbc8f1391, v33
	s_delay_alu instid0(VALU_DEP_1) | instskip(NEXT) | instid1(VALU_DEP_1)
	v_lshrrev_b32_e32 v34, 15, v34
	v_mul_u32_u24_e32 v35, 0xadc8, v34
	v_mul_u32_u24_e32 v34, 0xd47, v34
	s_delay_alu instid0(VALU_DEP_2) | instskip(NEXT) | instid1(VALU_DEP_2)
	v_sub_nc_u32_e32 v35, v33, v35
	v_xor_b32_e32 v36, 0x7fffffff, v34
	v_add_nc_u32_e32 v33, -1, v33
	s_delay_alu instid0(VALU_DEP_3) | instskip(SKIP_1) | instid1(VALU_DEP_2)
	v_mul_lo_u32 v35, 0xbc8f, v35
	v_sub_nc_u32_e32 v37, 0, v34
	v_cmp_lt_u32_e32 vcc_lo, v35, v34
	s_delay_alu instid0(VALU_DEP_2) | instskip(NEXT) | instid1(VALU_DEP_1)
	v_cndmask_b32_e32 v34, v37, v36, vcc_lo
	v_add_nc_u32_e32 v35, v34, v35
	s_delay_alu instid0(VALU_DEP_1) | instskip(NEXT) | instid1(VALU_DEP_1)
	v_mul_hi_u32 v34, 0xbc8f1391, v35
	v_lshrrev_b32_e32 v34, 15, v34
	s_delay_alu instid0(VALU_DEP_1) | instskip(SKIP_1) | instid1(VALU_DEP_2)
	v_mul_u32_u24_e32 v36, 0xadc8, v34
	v_mul_u32_u24_e32 v34, 0xd47, v34
	v_sub_nc_u32_e32 v36, v35, v36
	s_delay_alu instid0(VALU_DEP_2) | instskip(NEXT) | instid1(VALU_DEP_2)
	v_xor_b32_e32 v37, 0x7fffffff, v34
	v_mul_lo_u32 v36, 0xbc8f, v36
	v_sub_nc_u32_e32 v38, 0, v34
	s_delay_alu instid0(VALU_DEP_2) | instskip(NEXT) | instid1(VALU_DEP_2)
	v_cmp_lt_u32_e32 vcc_lo, v36, v34
	v_dual_cndmask_b32 v34, v38, v37, vcc_lo :: v_dual_add_f32 v38, 1.0, v7
	s_delay_alu instid0(VALU_DEP_1) | instskip(NEXT) | instid1(VALU_DEP_1)
	v_add_nc_u32_e32 v36, v34, v36
	v_mul_hi_u32 v34, 0xbc8f1391, v36
	s_delay_alu instid0(VALU_DEP_1) | instskip(NEXT) | instid1(VALU_DEP_1)
	v_lshrrev_b32_e32 v34, 15, v34
	v_mul_u32_u24_e32 v37, 0xadc8, v34
	v_mul_u32_u24_e32 v39, 0xd47, v34
	v_cvt_f32_u32_e32 v34, v33
	s_delay_alu instid0(VALU_DEP_3) | instskip(NEXT) | instid1(VALU_DEP_3)
	v_sub_nc_u32_e32 v37, v36, v37
	v_xor_b32_e32 v33, 0x7fffffff, v39
	v_dual_sub_nc_u32 v40, 0, v39 :: v_dual_add_nc_u32 v36, -1, v36
	s_delay_alu instid0(VALU_DEP_3) | instskip(NEXT) | instid1(VALU_DEP_2)
	v_mul_lo_u32 v37, 0xbc8f, v37
	v_cvt_f32_u32_e32 v36, v36
	s_delay_alu instid0(VALU_DEP_2) | instskip(NEXT) | instid1(VALU_DEP_4)
	v_cmp_lt_u32_e32 vcc_lo, v37, v39
	v_dual_add_nc_u32 v35, -1, v35 :: v_dual_cndmask_b32 v33, v40, v33, vcc_lo
	s_delay_alu instid0(VALU_DEP_1) | instskip(NEXT) | instid1(VALU_DEP_2)
	v_cvt_f32_u32_e32 v35, v35
	v_add_nc_u32_e32 v33, v33, v37
	s_delay_alu instid0(VALU_DEP_2) | instskip(NEXT) | instid1(VALU_DEP_1)
	v_pk_fma_f32 v[34:35], v[34:35], s[12:13], 0 op_sel_hi:[1,0,0]
	v_pk_mul_f32 v[34:35], v[34:35], v[34:35]
	s_delay_alu instid0(VALU_DEP_1) | instskip(NEXT) | instid1(VALU_DEP_1)
	v_dual_add_nc_u32 v37, -1, v33 :: v_dual_add_f32 v39, v34, v35
	v_cvt_f32_u32_e32 v37, v37
	s_delay_alu instid0(VALU_DEP_2) | instskip(NEXT) | instid1(VALU_DEP_2)
	v_cmp_gt_f32_e32 vcc_lo, 0xf800000, v39
	v_pk_fma_f32 v[34:35], v[36:37], s[12:13], 0 op_sel_hi:[1,0,0]
	s_add_co_i32 s13, s13, -2
	s_delay_alu instid0(SALU_CYCLE_1) | instskip(NEXT) | instid1(VALU_DEP_1)
	s_cmp_lg_u32 s13, 0
	v_pk_mul_f32 v[34:35], v[34:35], v[34:35]
	s_delay_alu instid0(VALU_DEP_1) | instskip(NEXT) | instid1(VALU_DEP_1)
	v_add_f32_e32 v34, v34, v35
	v_dual_mul_f32 v36, 0x4f800000, v39 :: v_dual_mul_f32 v37, 0x4f800000, v34
	s_delay_alu instid0(VALU_DEP_1) | instskip(SKIP_1) | instid1(VALU_DEP_2)
	v_cndmask_b32_e32 v36, v39, v36, vcc_lo
	v_cmp_gt_f32_e64 s9, 0xf800000, v34
	v_sqrt_f32_e32 v35, v36
	v_nop
	s_delay_alu instid0(TRANS32_DEP_1) | instskip(NEXT) | instid1(VALU_DEP_1)
	v_dual_add_nc_u32 v39, -1, v35 :: v_dual_cndmask_b32 v34, v34, v37, s9
	v_dual_add_nc_u32 v37, 1, v35 :: v_dual_fma_f32 v40, -v39, v35, v36
	s_delay_alu instid0(VALU_DEP_2) | instskip(NEXT) | instid1(VALU_DEP_1)
	v_sqrt_f32_e32 v41, v34
	v_fma_f32 v42, -v37, v35, v36
	s_delay_alu instid0(VALU_DEP_2)
	v_cmp_ge_f32_e64 s10, 0, v40
	s_delay_alu instid0(TRANS32_DEP_1) | instid1(VALU_DEP_1)
	v_dual_cndmask_b32 v35, v35, v39, s10 :: v_dual_add_nc_u32 v39, -1, v41
	s_delay_alu instid0(VALU_DEP_3) | instskip(NEXT) | instid1(VALU_DEP_1)
	v_cmp_lt_f32_e64 s10, 0, v42
	v_cndmask_b32_e64 v35, v35, v37, s10
	s_delay_alu instid0(VALU_DEP_3) | instskip(NEXT) | instid1(VALU_DEP_1)
	v_dual_add_nc_u32 v37, 1, v41 :: v_dual_fma_f32 v40, -v39, v41, v34
	v_fma_f32 v43, -v37, v41, v34
	s_delay_alu instid0(VALU_DEP_2) | instskip(NEXT) | instid1(VALU_DEP_1)
	v_cmp_ge_f32_e64 s10, 0, v40
	v_cndmask_b32_e64 v39, v41, v39, s10
	v_mul_f32_e32 v42, 0x37800000, v35
	s_delay_alu instid0(VALU_DEP_4) | instskip(NEXT) | instid1(VALU_DEP_1)
	v_cmp_lt_f32_e64 s10, 0, v43
	v_cndmask_b32_e64 v37, v39, v37, s10
	s_delay_alu instid0(VALU_DEP_3) | instskip(SKIP_1) | instid1(VALU_DEP_2)
	v_cndmask_b32_e32 v35, v35, v42, vcc_lo
	v_cmp_class_f32_e64 vcc_lo, v36, 0x260
	v_cndmask_b32_e32 v35, v35, v36, vcc_lo
	s_delay_alu instid0(VALU_DEP_1) | instskip(SKIP_2) | instid1(VALU_DEP_2)
	v_cmp_nge_f32_e32 vcc_lo, 1.0, v35
	v_dual_cndmask_b32 v7, v38, v7 :: v_dual_mul_f32 v36, 0x37800000, v37
	v_cmp_class_f32_e64 vcc_lo, v34, 0x260
	v_dual_cndmask_b32 v35, v37, v36, s9 :: v_dual_add_f32 v36, 1.0, v7
	s_delay_alu instid0(VALU_DEP_1) | instskip(NEXT) | instid1(VALU_DEP_1)
	v_cndmask_b32_e32 v34, v35, v34, vcc_lo
	v_cmp_nge_f32_e32 vcc_lo, 1.0, v34
	s_delay_alu instid0(VALU_DEP_3)
	v_cndmask_b32_e32 v7, v36, v7, vcc_lo
	s_cbranch_scc1 .LBB27_150
; %bb.151:
	s_delay_alu instid0(VALU_DEP_1) | instskip(NEXT) | instid1(VALU_DEP_1)
	v_mul_f32_e32 v7, 4.0, v7
	v_div_scale_f32 v33, null, 0x461c4000, 0x461c4000, v7
	s_delay_alu instid0(VALU_DEP_1) | instskip(SKIP_1) | instid1(TRANS32_DEP_1)
	v_rcp_f32_e32 v34, v33
	v_nop
	v_fma_f32 v35, -v33, v34, 1.0
	s_delay_alu instid0(VALU_DEP_1) | instskip(SKIP_1) | instid1(VALU_DEP_1)
	v_fmac_f32_e32 v34, v35, v34
	v_div_scale_f32 v35, vcc_lo, v7, 0x461c4000, v7
	v_mul_f32_e32 v36, v35, v34
	s_delay_alu instid0(VALU_DEP_1) | instskip(NEXT) | instid1(VALU_DEP_1)
	v_fma_f32 v37, -v33, v36, v35
	v_fmac_f32_e32 v36, v37, v34
	s_delay_alu instid0(VALU_DEP_1) | instskip(NEXT) | instid1(VALU_DEP_1)
	v_fma_f32 v33, -v33, v36, v35
	v_div_fmas_f32 v33, v33, v34, v36
	s_delay_alu instid0(VALU_DEP_1)
	v_div_fixup_f32 v7, v33, 0x461c4000, v7
.LBB27_152:
	s_or_b32 exec_lo, exec_lo, s11
	v_or_b32_e32 v33, 0x800, v0
	s_delay_alu instid0(VALU_DEP_1)
	v_cmp_gt_u32_e64 s9, s46, v33
	s_and_saveexec_b32 s13, s9
	s_cbranch_execz .LBB27_156
; %bb.153:
	v_add_nc_u32_e32 v10, s35, v33
	s_movk_i32 s14, 0x2710
	s_brev_b32 s12, 12
	s_delay_alu instid0(VALU_DEP_1) | instskip(NEXT) | instid1(VALU_DEP_1)
	v_lshlrev_b32_e32 v33, 12, v10
	v_add3_u32 v10, v10, v33, 0x7ed55d16
	s_delay_alu instid0(VALU_DEP_1) | instskip(NEXT) | instid1(VALU_DEP_1)
	v_lshrrev_b32_e32 v33, 19, v10
	v_xor3_b32 v10, v10, v33, 0xc761c23c
	s_delay_alu instid0(VALU_DEP_1) | instskip(NEXT) | instid1(VALU_DEP_1)
	v_lshl_add_u32 v10, v10, 5, v10
	v_add_nc_u32_e32 v33, 0xe9f8cc1d, v10
	v_lshl_add_u32 v10, v10, 9, 0xaccf6200
	s_delay_alu instid0(VALU_DEP_1) | instskip(NEXT) | instid1(VALU_DEP_1)
	v_xor_b32_e32 v10, v33, v10
	v_lshlrev_b32_e32 v33, 3, v10
	s_delay_alu instid0(VALU_DEP_1) | instskip(NEXT) | instid1(VALU_DEP_1)
	v_add3_u32 v10, v10, v33, 0xfd7046c5
	v_lshrrev_b32_e32 v33, 16, v10
	s_delay_alu instid0(VALU_DEP_1) | instskip(NEXT) | instid1(VALU_DEP_1)
	v_xor3_b32 v10, v10, v33, 0xb55a4f09
	v_mul_hi_u32 v33, v10, 3
	s_delay_alu instid0(VALU_DEP_1) | instskip(NEXT) | instid1(VALU_DEP_1)
	v_sub_nc_u32_e32 v34, v10, v33
	v_lshrrev_b32_e32 v34, 1, v34
	s_delay_alu instid0(VALU_DEP_1) | instskip(NEXT) | instid1(VALU_DEP_1)
	v_add_nc_u32_e32 v33, v34, v33
	v_lshrrev_b32_e32 v33, 30, v33
	s_delay_alu instid0(VALU_DEP_1) | instskip(NEXT) | instid1(VALU_DEP_1)
	v_mul_lo_u32 v33, 0x7fffffff, v33
	v_sub_nc_u32_e32 v10, v10, v33
	s_delay_alu instid0(VALU_DEP_1)
	v_max_u32_e32 v33, 1, v10
	v_mov_b32_e32 v10, 0
.LBB27_154:                             ; =>This Inner Loop Header: Depth=1
	s_delay_alu instid0(VALU_DEP_2) | instskip(SKIP_1) | instid1(SALU_CYCLE_1)
	v_mul_hi_u32 v34, 0xbc8f1391, v33
	s_add_co_i32 s14, s14, -2
	s_cmp_lg_u32 s14, 0
	s_delay_alu instid0(VALU_DEP_1) | instskip(NEXT) | instid1(VALU_DEP_1)
	v_lshrrev_b32_e32 v34, 15, v34
	v_mul_u32_u24_e32 v35, 0xadc8, v34
	s_delay_alu instid0(VALU_DEP_1) | instskip(SKIP_1) | instid1(VALU_DEP_2)
	v_sub_nc_u32_e32 v33, v33, v35
	v_mul_u32_u24_e32 v34, 0xd47, v34
	v_mul_lo_u32 v33, 0xbc8f, v33
	s_delay_alu instid0(VALU_DEP_2) | instskip(SKIP_1) | instid1(VALU_DEP_3)
	v_xor_b32_e32 v35, 0x7fffffff, v34
	v_sub_nc_u32_e32 v36, 0, v34
	v_cmp_lt_u32_e32 vcc_lo, v33, v34
	s_delay_alu instid0(VALU_DEP_2) | instskip(NEXT) | instid1(VALU_DEP_1)
	v_cndmask_b32_e32 v34, v36, v35, vcc_lo
	v_add_nc_u32_e32 v33, v34, v33
	s_delay_alu instid0(VALU_DEP_1) | instskip(NEXT) | instid1(VALU_DEP_1)
	v_mul_hi_u32 v34, 0xbc8f1391, v33
	v_lshrrev_b32_e32 v34, 15, v34
	s_delay_alu instid0(VALU_DEP_1) | instskip(SKIP_1) | instid1(VALU_DEP_2)
	v_mul_u32_u24_e32 v35, 0xadc8, v34
	v_mul_u32_u24_e32 v34, 0xd47, v34
	v_sub_nc_u32_e32 v35, v33, v35
	s_delay_alu instid0(VALU_DEP_2) | instskip(SKIP_1) | instid1(VALU_DEP_3)
	v_xor_b32_e32 v36, 0x7fffffff, v34
	v_add_nc_u32_e32 v33, -1, v33
	v_mul_lo_u32 v35, 0xbc8f, v35
	v_sub_nc_u32_e32 v37, 0, v34
	s_delay_alu instid0(VALU_DEP_2) | instskip(NEXT) | instid1(VALU_DEP_2)
	v_cmp_lt_u32_e32 vcc_lo, v35, v34
	v_cndmask_b32_e32 v34, v37, v36, vcc_lo
	s_delay_alu instid0(VALU_DEP_1) | instskip(NEXT) | instid1(VALU_DEP_1)
	v_add_nc_u32_e32 v35, v34, v35
	v_mul_hi_u32 v34, 0xbc8f1391, v35
	s_delay_alu instid0(VALU_DEP_1) | instskip(NEXT) | instid1(VALU_DEP_1)
	v_lshrrev_b32_e32 v34, 15, v34
	v_mul_u32_u24_e32 v36, 0xadc8, v34
	v_mul_u32_u24_e32 v34, 0xd47, v34
	s_delay_alu instid0(VALU_DEP_2) | instskip(NEXT) | instid1(VALU_DEP_2)
	v_sub_nc_u32_e32 v36, v35, v36
	v_xor_b32_e32 v37, 0x7fffffff, v34
	s_delay_alu instid0(VALU_DEP_2) | instskip(SKIP_1) | instid1(VALU_DEP_2)
	v_mul_lo_u32 v36, 0xbc8f, v36
	v_sub_nc_u32_e32 v38, 0, v34
	v_cmp_lt_u32_e32 vcc_lo, v36, v34
	s_delay_alu instid0(VALU_DEP_2) | instskip(NEXT) | instid1(VALU_DEP_1)
	v_dual_cndmask_b32 v34, v38, v37, vcc_lo :: v_dual_add_f32 v38, 1.0, v10
	v_add_nc_u32_e32 v36, v34, v36
	s_delay_alu instid0(VALU_DEP_1) | instskip(NEXT) | instid1(VALU_DEP_1)
	v_mul_hi_u32 v34, 0xbc8f1391, v36
	v_lshrrev_b32_e32 v34, 15, v34
	s_delay_alu instid0(VALU_DEP_1) | instskip(SKIP_2) | instid1(VALU_DEP_3)
	v_mul_u32_u24_e32 v37, 0xadc8, v34
	v_mul_u32_u24_e32 v39, 0xd47, v34
	v_cvt_f32_u32_e32 v34, v33
	v_sub_nc_u32_e32 v37, v36, v37
	s_delay_alu instid0(VALU_DEP_3) | instskip(SKIP_1) | instid1(VALU_DEP_3)
	v_xor_b32_e32 v33, 0x7fffffff, v39
	v_dual_sub_nc_u32 v40, 0, v39 :: v_dual_add_nc_u32 v36, -1, v36
	v_mul_lo_u32 v37, 0xbc8f, v37
	s_delay_alu instid0(VALU_DEP_2) | instskip(NEXT) | instid1(VALU_DEP_2)
	v_cvt_f32_u32_e32 v36, v36
	v_cmp_lt_u32_e32 vcc_lo, v37, v39
	s_delay_alu instid0(VALU_DEP_4) | instskip(NEXT) | instid1(VALU_DEP_1)
	v_dual_add_nc_u32 v35, -1, v35 :: v_dual_cndmask_b32 v33, v40, v33, vcc_lo
	v_cvt_f32_u32_e32 v35, v35
	s_delay_alu instid0(VALU_DEP_2) | instskip(NEXT) | instid1(VALU_DEP_2)
	v_add_nc_u32_e32 v33, v33, v37
	v_pk_fma_f32 v[34:35], v[34:35], s[12:13], 0 op_sel_hi:[1,0,0]
	s_delay_alu instid0(VALU_DEP_1) | instskip(NEXT) | instid1(VALU_DEP_1)
	v_pk_mul_f32 v[34:35], v[34:35], v[34:35]
	v_dual_add_nc_u32 v37, -1, v33 :: v_dual_add_f32 v39, v34, v35
	s_delay_alu instid0(VALU_DEP_1) | instskip(NEXT) | instid1(VALU_DEP_2)
	v_cvt_f32_u32_e32 v37, v37
	v_cmp_gt_f32_e32 vcc_lo, 0xf800000, v39
	s_delay_alu instid0(VALU_DEP_2) | instskip(NEXT) | instid1(VALU_DEP_1)
	v_pk_fma_f32 v[34:35], v[36:37], s[12:13], 0 op_sel_hi:[1,0,0]
	v_pk_mul_f32 v[34:35], v[34:35], v[34:35]
	s_delay_alu instid0(VALU_DEP_1) | instskip(NEXT) | instid1(VALU_DEP_1)
	v_add_f32_e32 v34, v34, v35
	v_dual_mul_f32 v36, 0x4f800000, v39 :: v_dual_mul_f32 v37, 0x4f800000, v34
	s_delay_alu instid0(VALU_DEP_1) | instskip(SKIP_1) | instid1(VALU_DEP_2)
	v_cndmask_b32_e32 v36, v39, v36, vcc_lo
	v_cmp_gt_f32_e64 s10, 0xf800000, v34
	v_sqrt_f32_e32 v35, v36
	v_nop
	s_delay_alu instid0(TRANS32_DEP_1) | instskip(NEXT) | instid1(VALU_DEP_1)
	v_dual_add_nc_u32 v39, -1, v35 :: v_dual_cndmask_b32 v34, v34, v37, s10
	v_dual_add_nc_u32 v37, 1, v35 :: v_dual_fma_f32 v40, -v39, v35, v36
	s_delay_alu instid0(VALU_DEP_2) | instskip(NEXT) | instid1(VALU_DEP_1)
	v_sqrt_f32_e32 v41, v34
	v_fma_f32 v42, -v37, v35, v36
	s_delay_alu instid0(VALU_DEP_2)
	v_cmp_ge_f32_e64 s11, 0, v40
	s_delay_alu instid0(TRANS32_DEP_1) | instid1(VALU_DEP_1)
	v_dual_cndmask_b32 v35, v35, v39, s11 :: v_dual_add_nc_u32 v39, -1, v41
	s_delay_alu instid0(VALU_DEP_3) | instskip(NEXT) | instid1(VALU_DEP_1)
	v_cmp_lt_f32_e64 s11, 0, v42
	v_cndmask_b32_e64 v35, v35, v37, s11
	s_delay_alu instid0(VALU_DEP_3) | instskip(NEXT) | instid1(VALU_DEP_1)
	v_dual_add_nc_u32 v37, 1, v41 :: v_dual_fma_f32 v40, -v39, v41, v34
	v_fma_f32 v43, -v37, v41, v34
	s_delay_alu instid0(VALU_DEP_2) | instskip(NEXT) | instid1(VALU_DEP_1)
	v_cmp_ge_f32_e64 s11, 0, v40
	v_cndmask_b32_e64 v39, v41, v39, s11
	v_mul_f32_e32 v42, 0x37800000, v35
	s_delay_alu instid0(VALU_DEP_4) | instskip(NEXT) | instid1(VALU_DEP_1)
	v_cmp_lt_f32_e64 s11, 0, v43
	v_cndmask_b32_e64 v37, v39, v37, s11
	s_delay_alu instid0(VALU_DEP_3) | instskip(SKIP_1) | instid1(VALU_DEP_2)
	v_cndmask_b32_e32 v35, v35, v42, vcc_lo
	v_cmp_class_f32_e64 vcc_lo, v36, 0x260
	v_cndmask_b32_e32 v35, v35, v36, vcc_lo
	s_delay_alu instid0(VALU_DEP_1) | instskip(SKIP_3) | instid1(VALU_DEP_2)
	v_cmp_nge_f32_e32 vcc_lo, 1.0, v35
	v_cndmask_b32_e32 v10, v38, v10, vcc_lo
	v_mul_f32_e32 v36, 0x37800000, v37
	v_cmp_class_f32_e64 vcc_lo, v34, 0x260
	v_dual_cndmask_b32 v35, v37, v36, s10 :: v_dual_add_f32 v36, 1.0, v10
	s_delay_alu instid0(VALU_DEP_1) | instskip(NEXT) | instid1(VALU_DEP_1)
	v_cndmask_b32_e32 v34, v35, v34, vcc_lo
	v_cmp_nge_f32_e32 vcc_lo, 1.0, v34
	s_delay_alu instid0(VALU_DEP_3)
	v_cndmask_b32_e32 v10, v36, v10, vcc_lo
	s_cbranch_scc1 .LBB27_154
; %bb.155:
	s_delay_alu instid0(VALU_DEP_1) | instskip(NEXT) | instid1(VALU_DEP_1)
	v_mul_f32_e32 v10, 4.0, v10
	v_div_scale_f32 v33, null, 0x461c4000, 0x461c4000, v10
	s_delay_alu instid0(VALU_DEP_1) | instskip(SKIP_1) | instid1(TRANS32_DEP_1)
	v_rcp_f32_e32 v34, v33
	v_nop
	v_fma_f32 v35, -v33, v34, 1.0
	s_delay_alu instid0(VALU_DEP_1) | instskip(SKIP_1) | instid1(VALU_DEP_1)
	v_fmac_f32_e32 v34, v35, v34
	v_div_scale_f32 v35, vcc_lo, v10, 0x461c4000, v10
	v_mul_f32_e32 v36, v35, v34
	s_delay_alu instid0(VALU_DEP_1) | instskip(NEXT) | instid1(VALU_DEP_1)
	v_fma_f32 v37, -v33, v36, v35
	v_fmac_f32_e32 v36, v37, v34
	s_delay_alu instid0(VALU_DEP_1) | instskip(NEXT) | instid1(VALU_DEP_1)
	v_fma_f32 v33, -v33, v36, v35
	v_div_fmas_f32 v33, v33, v34, v36
	s_delay_alu instid0(VALU_DEP_1)
	v_div_fixup_f32 v10, v33, 0x461c4000, v10
.LBB27_156:
	s_or_b32 exec_lo, exec_lo, s13
	v_or_b32_e32 v33, 0x900, v0
	s_delay_alu instid0(VALU_DEP_1)
	v_cmp_gt_u32_e64 s10, s46, v33
	s_and_saveexec_b32 s13, s10
	s_cbranch_execz .LBB27_160
; %bb.157:
	v_add_nc_u32_e32 v9, s35, v33
	s_movk_i32 s15, 0x2710
	s_brev_b32 s14, 12
	s_delay_alu instid0(VALU_DEP_1) | instskip(NEXT) | instid1(VALU_DEP_1)
	v_lshlrev_b32_e32 v33, 12, v9
	v_add3_u32 v9, v9, v33, 0x7ed55d16
	s_delay_alu instid0(VALU_DEP_1) | instskip(NEXT) | instid1(VALU_DEP_1)
	v_lshrrev_b32_e32 v33, 19, v9
	v_xor3_b32 v9, v9, v33, 0xc761c23c
	s_delay_alu instid0(VALU_DEP_1) | instskip(NEXT) | instid1(VALU_DEP_1)
	v_lshl_add_u32 v9, v9, 5, v9
	v_add_nc_u32_e32 v33, 0xe9f8cc1d, v9
	v_lshl_add_u32 v9, v9, 9, 0xaccf6200
	s_delay_alu instid0(VALU_DEP_1) | instskip(NEXT) | instid1(VALU_DEP_1)
	v_xor_b32_e32 v9, v33, v9
	v_lshlrev_b32_e32 v33, 3, v9
	s_delay_alu instid0(VALU_DEP_1) | instskip(NEXT) | instid1(VALU_DEP_1)
	v_add3_u32 v9, v9, v33, 0xfd7046c5
	v_lshrrev_b32_e32 v33, 16, v9
	s_delay_alu instid0(VALU_DEP_1) | instskip(NEXT) | instid1(VALU_DEP_1)
	v_xor3_b32 v9, v9, v33, 0xb55a4f09
	v_mul_hi_u32 v33, v9, 3
	s_delay_alu instid0(VALU_DEP_1) | instskip(NEXT) | instid1(VALU_DEP_1)
	v_sub_nc_u32_e32 v34, v9, v33
	v_lshrrev_b32_e32 v34, 1, v34
	s_delay_alu instid0(VALU_DEP_1) | instskip(NEXT) | instid1(VALU_DEP_1)
	v_add_nc_u32_e32 v33, v34, v33
	v_lshrrev_b32_e32 v33, 30, v33
	s_delay_alu instid0(VALU_DEP_1) | instskip(NEXT) | instid1(VALU_DEP_1)
	v_mul_lo_u32 v33, 0x7fffffff, v33
	v_sub_nc_u32_e32 v9, v9, v33
	s_delay_alu instid0(VALU_DEP_1)
	v_max_u32_e32 v33, 1, v9
	v_mov_b32_e32 v9, 0
.LBB27_158:                             ; =>This Inner Loop Header: Depth=1
	s_delay_alu instid0(VALU_DEP_2) | instskip(NEXT) | instid1(VALU_DEP_1)
	v_mul_hi_u32 v34, 0xbc8f1391, v33
	v_lshrrev_b32_e32 v34, 15, v34
	s_delay_alu instid0(VALU_DEP_1) | instskip(NEXT) | instid1(VALU_DEP_1)
	v_mul_u32_u24_e32 v35, 0xadc8, v34
	v_sub_nc_u32_e32 v33, v33, v35
	v_mul_u32_u24_e32 v34, 0xd47, v34
	s_delay_alu instid0(VALU_DEP_2) | instskip(NEXT) | instid1(VALU_DEP_2)
	v_mul_lo_u32 v33, 0xbc8f, v33
	v_xor_b32_e32 v35, 0x7fffffff, v34
	v_sub_nc_u32_e32 v36, 0, v34
	s_delay_alu instid0(VALU_DEP_3) | instskip(NEXT) | instid1(VALU_DEP_2)
	v_cmp_lt_u32_e32 vcc_lo, v33, v34
	v_cndmask_b32_e32 v34, v36, v35, vcc_lo
	s_delay_alu instid0(VALU_DEP_1) | instskip(NEXT) | instid1(VALU_DEP_1)
	v_add_nc_u32_e32 v33, v34, v33
	v_mul_hi_u32 v34, 0xbc8f1391, v33
	s_delay_alu instid0(VALU_DEP_1) | instskip(NEXT) | instid1(VALU_DEP_1)
	v_lshrrev_b32_e32 v34, 15, v34
	v_mul_u32_u24_e32 v35, 0xadc8, v34
	v_mul_u32_u24_e32 v34, 0xd47, v34
	s_delay_alu instid0(VALU_DEP_2) | instskip(NEXT) | instid1(VALU_DEP_2)
	v_sub_nc_u32_e32 v35, v33, v35
	v_xor_b32_e32 v36, 0x7fffffff, v34
	v_add_nc_u32_e32 v33, -1, v33
	s_delay_alu instid0(VALU_DEP_3) | instskip(SKIP_1) | instid1(VALU_DEP_2)
	v_mul_lo_u32 v35, 0xbc8f, v35
	v_sub_nc_u32_e32 v37, 0, v34
	v_cmp_lt_u32_e32 vcc_lo, v35, v34
	s_delay_alu instid0(VALU_DEP_2) | instskip(NEXT) | instid1(VALU_DEP_1)
	v_cndmask_b32_e32 v34, v37, v36, vcc_lo
	v_add_nc_u32_e32 v35, v34, v35
	s_delay_alu instid0(VALU_DEP_1) | instskip(NEXT) | instid1(VALU_DEP_1)
	v_mul_hi_u32 v34, 0xbc8f1391, v35
	v_lshrrev_b32_e32 v34, 15, v34
	s_delay_alu instid0(VALU_DEP_1) | instskip(SKIP_1) | instid1(VALU_DEP_2)
	v_mul_u32_u24_e32 v36, 0xadc8, v34
	v_mul_u32_u24_e32 v34, 0xd47, v34
	v_sub_nc_u32_e32 v36, v35, v36
	s_delay_alu instid0(VALU_DEP_2) | instskip(NEXT) | instid1(VALU_DEP_2)
	v_xor_b32_e32 v37, 0x7fffffff, v34
	v_mul_lo_u32 v36, 0xbc8f, v36
	v_sub_nc_u32_e32 v38, 0, v34
	s_delay_alu instid0(VALU_DEP_2) | instskip(NEXT) | instid1(VALU_DEP_2)
	v_cmp_lt_u32_e32 vcc_lo, v36, v34
	v_cndmask_b32_e32 v34, v38, v37, vcc_lo
	s_delay_alu instid0(VALU_DEP_1) | instskip(NEXT) | instid1(VALU_DEP_1)
	v_dual_add_f32 v38, 1.0, v9 :: v_dual_add_nc_u32 v36, v34, v36
	v_mul_hi_u32 v34, 0xbc8f1391, v36
	s_delay_alu instid0(VALU_DEP_1) | instskip(NEXT) | instid1(VALU_DEP_1)
	v_lshrrev_b32_e32 v34, 15, v34
	v_mul_u32_u24_e32 v37, 0xadc8, v34
	v_mul_u32_u24_e32 v39, 0xd47, v34
	v_cvt_f32_u32_e32 v34, v33
	s_delay_alu instid0(VALU_DEP_3) | instskip(NEXT) | instid1(VALU_DEP_3)
	v_sub_nc_u32_e32 v37, v36, v37
	v_xor_b32_e32 v33, 0x7fffffff, v39
	v_dual_sub_nc_u32 v40, 0, v39 :: v_dual_add_nc_u32 v36, -1, v36
	s_delay_alu instid0(VALU_DEP_3) | instskip(NEXT) | instid1(VALU_DEP_2)
	v_mul_lo_u32 v37, 0xbc8f, v37
	v_cvt_f32_u32_e32 v36, v36
	s_delay_alu instid0(VALU_DEP_2) | instskip(NEXT) | instid1(VALU_DEP_4)
	v_cmp_lt_u32_e32 vcc_lo, v37, v39
	v_dual_add_nc_u32 v35, -1, v35 :: v_dual_cndmask_b32 v33, v40, v33, vcc_lo
	s_delay_alu instid0(VALU_DEP_1) | instskip(NEXT) | instid1(VALU_DEP_2)
	v_cvt_f32_u32_e32 v35, v35
	v_add_nc_u32_e32 v33, v33, v37
	s_delay_alu instid0(VALU_DEP_2) | instskip(NEXT) | instid1(VALU_DEP_1)
	v_pk_fma_f32 v[34:35], v[34:35], s[14:15], 0 op_sel_hi:[1,0,0]
	v_pk_mul_f32 v[34:35], v[34:35], v[34:35]
	s_delay_alu instid0(VALU_DEP_1) | instskip(NEXT) | instid1(VALU_DEP_1)
	v_dual_add_nc_u32 v37, -1, v33 :: v_dual_add_f32 v39, v34, v35
	v_cvt_f32_u32_e32 v37, v37
	s_delay_alu instid0(VALU_DEP_2) | instskip(NEXT) | instid1(VALU_DEP_2)
	v_cmp_gt_f32_e32 vcc_lo, 0xf800000, v39
	v_pk_fma_f32 v[34:35], v[36:37], s[14:15], 0 op_sel_hi:[1,0,0]
	s_add_co_i32 s15, s15, -2
	s_delay_alu instid0(SALU_CYCLE_1) | instskip(NEXT) | instid1(VALU_DEP_1)
	s_cmp_lg_u32 s15, 0
	v_pk_mul_f32 v[34:35], v[34:35], v[34:35]
	s_delay_alu instid0(VALU_DEP_1) | instskip(NEXT) | instid1(VALU_DEP_1)
	v_add_f32_e32 v34, v34, v35
	v_dual_mul_f32 v36, 0x4f800000, v39 :: v_dual_mul_f32 v37, 0x4f800000, v34
	s_delay_alu instid0(VALU_DEP_1) | instskip(SKIP_1) | instid1(VALU_DEP_2)
	v_cndmask_b32_e32 v36, v39, v36, vcc_lo
	v_cmp_gt_f32_e64 s11, 0xf800000, v34
	v_sqrt_f32_e32 v35, v36
	v_nop
	s_delay_alu instid0(TRANS32_DEP_1) | instskip(NEXT) | instid1(VALU_DEP_1)
	v_dual_add_nc_u32 v39, -1, v35 :: v_dual_cndmask_b32 v34, v34, v37, s11
	v_dual_add_nc_u32 v37, 1, v35 :: v_dual_fma_f32 v40, -v39, v35, v36
	s_delay_alu instid0(VALU_DEP_2) | instskip(NEXT) | instid1(VALU_DEP_1)
	v_sqrt_f32_e32 v41, v34
	v_fma_f32 v42, -v37, v35, v36
	s_delay_alu instid0(VALU_DEP_2)
	v_cmp_ge_f32_e64 s12, 0, v40
	s_delay_alu instid0(TRANS32_DEP_1) | instid1(VALU_DEP_1)
	v_dual_cndmask_b32 v35, v35, v39, s12 :: v_dual_add_nc_u32 v39, -1, v41
	s_delay_alu instid0(VALU_DEP_3) | instskip(NEXT) | instid1(VALU_DEP_1)
	v_cmp_lt_f32_e64 s12, 0, v42
	v_cndmask_b32_e64 v35, v35, v37, s12
	s_delay_alu instid0(VALU_DEP_3) | instskip(NEXT) | instid1(VALU_DEP_1)
	v_dual_add_nc_u32 v37, 1, v41 :: v_dual_fma_f32 v40, -v39, v41, v34
	v_fma_f32 v43, -v37, v41, v34
	s_delay_alu instid0(VALU_DEP_2) | instskip(NEXT) | instid1(VALU_DEP_1)
	v_cmp_ge_f32_e64 s12, 0, v40
	v_cndmask_b32_e64 v39, v41, v39, s12
	v_mul_f32_e32 v42, 0x37800000, v35
	s_delay_alu instid0(VALU_DEP_4) | instskip(NEXT) | instid1(VALU_DEP_1)
	v_cmp_lt_f32_e64 s12, 0, v43
	v_cndmask_b32_e64 v37, v39, v37, s12
	s_delay_alu instid0(VALU_DEP_3) | instskip(SKIP_1) | instid1(VALU_DEP_2)
	v_cndmask_b32_e32 v35, v35, v42, vcc_lo
	v_cmp_class_f32_e64 vcc_lo, v36, 0x260
	v_dual_cndmask_b32 v35, v35, v36 :: v_dual_mul_f32 v36, 0x37800000, v37
	s_delay_alu instid0(VALU_DEP_1) | instskip(NEXT) | instid1(VALU_DEP_2)
	v_cmp_nge_f32_e32 vcc_lo, 1.0, v35
	v_dual_cndmask_b32 v35, v37, v36, s11 :: v_dual_cndmask_b32 v9, v38, v9, vcc_lo
	v_cmp_class_f32_e64 vcc_lo, v34, 0x260
	s_delay_alu instid0(VALU_DEP_1) | instskip(NEXT) | instid1(VALU_DEP_1)
	v_dual_add_f32 v36, 1.0, v9 :: v_dual_cndmask_b32 v34, v35, v34, vcc_lo
	v_cmp_nge_f32_e32 vcc_lo, 1.0, v34
	s_delay_alu instid0(VALU_DEP_2)
	v_cndmask_b32_e32 v9, v36, v9, vcc_lo
	s_cbranch_scc1 .LBB27_158
; %bb.159:
	s_delay_alu instid0(VALU_DEP_1) | instskip(NEXT) | instid1(VALU_DEP_1)
	v_mul_f32_e32 v9, 4.0, v9
	v_div_scale_f32 v33, null, 0x461c4000, 0x461c4000, v9
	s_delay_alu instid0(VALU_DEP_1) | instskip(SKIP_1) | instid1(TRANS32_DEP_1)
	v_rcp_f32_e32 v34, v33
	v_nop
	v_fma_f32 v35, -v33, v34, 1.0
	s_delay_alu instid0(VALU_DEP_1) | instskip(SKIP_1) | instid1(VALU_DEP_1)
	v_fmac_f32_e32 v34, v35, v34
	v_div_scale_f32 v35, vcc_lo, v9, 0x461c4000, v9
	v_mul_f32_e32 v36, v35, v34
	s_delay_alu instid0(VALU_DEP_1) | instskip(NEXT) | instid1(VALU_DEP_1)
	v_fma_f32 v37, -v33, v36, v35
	v_fmac_f32_e32 v36, v37, v34
	s_delay_alu instid0(VALU_DEP_1) | instskip(NEXT) | instid1(VALU_DEP_1)
	v_fma_f32 v33, -v33, v36, v35
	v_div_fmas_f32 v33, v33, v34, v36
	s_delay_alu instid0(VALU_DEP_1)
	v_div_fixup_f32 v9, v33, 0x461c4000, v9
.LBB27_160:
	s_or_b32 exec_lo, exec_lo, s13
	v_or_b32_e32 v33, 0xa00, v0
	s_delay_alu instid0(VALU_DEP_1)
	v_cmp_gt_u32_e64 s11, s46, v33
	s_and_saveexec_b32 s15, s11
	s_cbranch_execz .LBB27_164
; %bb.161:
	v_add_nc_u32_e32 v12, s35, v33
	s_movk_i32 s16, 0x2710
	s_brev_b32 s14, 12
	s_delay_alu instid0(VALU_DEP_1) | instskip(NEXT) | instid1(VALU_DEP_1)
	v_lshlrev_b32_e32 v33, 12, v12
	v_add3_u32 v12, v12, v33, 0x7ed55d16
	s_delay_alu instid0(VALU_DEP_1) | instskip(NEXT) | instid1(VALU_DEP_1)
	v_lshrrev_b32_e32 v33, 19, v12
	v_xor3_b32 v12, v12, v33, 0xc761c23c
	s_delay_alu instid0(VALU_DEP_1) | instskip(NEXT) | instid1(VALU_DEP_1)
	v_lshl_add_u32 v12, v12, 5, v12
	v_add_nc_u32_e32 v33, 0xe9f8cc1d, v12
	v_lshl_add_u32 v12, v12, 9, 0xaccf6200
	s_delay_alu instid0(VALU_DEP_1) | instskip(NEXT) | instid1(VALU_DEP_1)
	v_xor_b32_e32 v12, v33, v12
	v_lshlrev_b32_e32 v33, 3, v12
	s_delay_alu instid0(VALU_DEP_1) | instskip(NEXT) | instid1(VALU_DEP_1)
	v_add3_u32 v12, v12, v33, 0xfd7046c5
	v_lshrrev_b32_e32 v33, 16, v12
	s_delay_alu instid0(VALU_DEP_1) | instskip(NEXT) | instid1(VALU_DEP_1)
	v_xor3_b32 v12, v12, v33, 0xb55a4f09
	v_mul_hi_u32 v33, v12, 3
	s_delay_alu instid0(VALU_DEP_1) | instskip(NEXT) | instid1(VALU_DEP_1)
	v_sub_nc_u32_e32 v34, v12, v33
	v_lshrrev_b32_e32 v34, 1, v34
	s_delay_alu instid0(VALU_DEP_1) | instskip(NEXT) | instid1(VALU_DEP_1)
	v_add_nc_u32_e32 v33, v34, v33
	v_lshrrev_b32_e32 v33, 30, v33
	s_delay_alu instid0(VALU_DEP_1) | instskip(NEXT) | instid1(VALU_DEP_1)
	v_mul_lo_u32 v33, 0x7fffffff, v33
	v_sub_nc_u32_e32 v12, v12, v33
	s_delay_alu instid0(VALU_DEP_1)
	v_max_u32_e32 v33, 1, v12
	v_mov_b32_e32 v12, 0
.LBB27_162:                             ; =>This Inner Loop Header: Depth=1
	s_delay_alu instid0(VALU_DEP_2) | instskip(SKIP_1) | instid1(SALU_CYCLE_1)
	v_mul_hi_u32 v34, 0xbc8f1391, v33
	s_add_co_i32 s16, s16, -2
	s_cmp_lg_u32 s16, 0
	s_delay_alu instid0(VALU_DEP_1) | instskip(NEXT) | instid1(VALU_DEP_1)
	v_lshrrev_b32_e32 v34, 15, v34
	v_mul_u32_u24_e32 v35, 0xadc8, v34
	s_delay_alu instid0(VALU_DEP_1) | instskip(SKIP_1) | instid1(VALU_DEP_2)
	v_sub_nc_u32_e32 v33, v33, v35
	v_mul_u32_u24_e32 v34, 0xd47, v34
	v_mul_lo_u32 v33, 0xbc8f, v33
	s_delay_alu instid0(VALU_DEP_2) | instskip(SKIP_1) | instid1(VALU_DEP_3)
	v_xor_b32_e32 v35, 0x7fffffff, v34
	v_sub_nc_u32_e32 v36, 0, v34
	v_cmp_lt_u32_e32 vcc_lo, v33, v34
	s_delay_alu instid0(VALU_DEP_2) | instskip(NEXT) | instid1(VALU_DEP_1)
	v_cndmask_b32_e32 v34, v36, v35, vcc_lo
	v_add_nc_u32_e32 v33, v34, v33
	s_delay_alu instid0(VALU_DEP_1) | instskip(NEXT) | instid1(VALU_DEP_1)
	v_mul_hi_u32 v34, 0xbc8f1391, v33
	v_lshrrev_b32_e32 v34, 15, v34
	s_delay_alu instid0(VALU_DEP_1) | instskip(SKIP_1) | instid1(VALU_DEP_2)
	v_mul_u32_u24_e32 v35, 0xadc8, v34
	v_mul_u32_u24_e32 v34, 0xd47, v34
	v_sub_nc_u32_e32 v35, v33, v35
	s_delay_alu instid0(VALU_DEP_2) | instskip(SKIP_1) | instid1(VALU_DEP_3)
	v_xor_b32_e32 v36, 0x7fffffff, v34
	v_add_nc_u32_e32 v33, -1, v33
	v_mul_lo_u32 v35, 0xbc8f, v35
	v_sub_nc_u32_e32 v37, 0, v34
	s_delay_alu instid0(VALU_DEP_2) | instskip(NEXT) | instid1(VALU_DEP_2)
	v_cmp_lt_u32_e32 vcc_lo, v35, v34
	v_cndmask_b32_e32 v34, v37, v36, vcc_lo
	s_delay_alu instid0(VALU_DEP_1) | instskip(NEXT) | instid1(VALU_DEP_1)
	v_add_nc_u32_e32 v35, v34, v35
	v_mul_hi_u32 v34, 0xbc8f1391, v35
	s_delay_alu instid0(VALU_DEP_1) | instskip(NEXT) | instid1(VALU_DEP_1)
	v_lshrrev_b32_e32 v34, 15, v34
	v_mul_u32_u24_e32 v36, 0xadc8, v34
	v_mul_u32_u24_e32 v34, 0xd47, v34
	s_delay_alu instid0(VALU_DEP_2) | instskip(NEXT) | instid1(VALU_DEP_2)
	v_sub_nc_u32_e32 v36, v35, v36
	v_xor_b32_e32 v37, 0x7fffffff, v34
	s_delay_alu instid0(VALU_DEP_2) | instskip(SKIP_1) | instid1(VALU_DEP_2)
	v_mul_lo_u32 v36, 0xbc8f, v36
	v_sub_nc_u32_e32 v38, 0, v34
	v_cmp_lt_u32_e32 vcc_lo, v36, v34
	s_delay_alu instid0(VALU_DEP_2) | instskip(NEXT) | instid1(VALU_DEP_1)
	v_dual_cndmask_b32 v34, v38, v37, vcc_lo :: v_dual_add_f32 v38, 1.0, v12
	v_add_nc_u32_e32 v36, v34, v36
	s_delay_alu instid0(VALU_DEP_1) | instskip(NEXT) | instid1(VALU_DEP_1)
	v_mul_hi_u32 v34, 0xbc8f1391, v36
	v_lshrrev_b32_e32 v34, 15, v34
	s_delay_alu instid0(VALU_DEP_1) | instskip(SKIP_2) | instid1(VALU_DEP_3)
	v_mul_u32_u24_e32 v37, 0xadc8, v34
	v_mul_u32_u24_e32 v39, 0xd47, v34
	v_cvt_f32_u32_e32 v34, v33
	v_sub_nc_u32_e32 v37, v36, v37
	s_delay_alu instid0(VALU_DEP_3) | instskip(SKIP_1) | instid1(VALU_DEP_3)
	v_xor_b32_e32 v33, 0x7fffffff, v39
	v_dual_sub_nc_u32 v40, 0, v39 :: v_dual_add_nc_u32 v36, -1, v36
	v_mul_lo_u32 v37, 0xbc8f, v37
	s_delay_alu instid0(VALU_DEP_2) | instskip(NEXT) | instid1(VALU_DEP_2)
	v_cvt_f32_u32_e32 v36, v36
	v_cmp_lt_u32_e32 vcc_lo, v37, v39
	s_delay_alu instid0(VALU_DEP_4) | instskip(NEXT) | instid1(VALU_DEP_1)
	v_dual_add_nc_u32 v35, -1, v35 :: v_dual_cndmask_b32 v33, v40, v33, vcc_lo
	v_cvt_f32_u32_e32 v35, v35
	s_delay_alu instid0(VALU_DEP_2) | instskip(NEXT) | instid1(VALU_DEP_2)
	v_add_nc_u32_e32 v33, v33, v37
	v_pk_fma_f32 v[34:35], v[34:35], s[14:15], 0 op_sel_hi:[1,0,0]
	s_delay_alu instid0(VALU_DEP_1) | instskip(NEXT) | instid1(VALU_DEP_1)
	v_pk_mul_f32 v[34:35], v[34:35], v[34:35]
	v_dual_add_nc_u32 v37, -1, v33 :: v_dual_add_f32 v39, v34, v35
	s_delay_alu instid0(VALU_DEP_1) | instskip(NEXT) | instid1(VALU_DEP_2)
	v_cvt_f32_u32_e32 v37, v37
	v_cmp_gt_f32_e32 vcc_lo, 0xf800000, v39
	s_delay_alu instid0(VALU_DEP_2) | instskip(NEXT) | instid1(VALU_DEP_1)
	v_pk_fma_f32 v[34:35], v[36:37], s[14:15], 0 op_sel_hi:[1,0,0]
	v_pk_mul_f32 v[34:35], v[34:35], v[34:35]
	s_delay_alu instid0(VALU_DEP_1) | instskip(NEXT) | instid1(VALU_DEP_1)
	v_add_f32_e32 v34, v34, v35
	v_dual_mul_f32 v36, 0x4f800000, v39 :: v_dual_mul_f32 v37, 0x4f800000, v34
	s_delay_alu instid0(VALU_DEP_1) | instskip(SKIP_1) | instid1(VALU_DEP_2)
	v_cndmask_b32_e32 v36, v39, v36, vcc_lo
	v_cmp_gt_f32_e64 s12, 0xf800000, v34
	v_sqrt_f32_e32 v35, v36
	v_nop
	s_delay_alu instid0(TRANS32_DEP_1) | instskip(NEXT) | instid1(VALU_DEP_1)
	v_dual_add_nc_u32 v39, -1, v35 :: v_dual_cndmask_b32 v34, v34, v37, s12
	v_dual_add_nc_u32 v37, 1, v35 :: v_dual_fma_f32 v40, -v39, v35, v36
	s_delay_alu instid0(VALU_DEP_2) | instskip(NEXT) | instid1(VALU_DEP_1)
	v_sqrt_f32_e32 v41, v34
	v_fma_f32 v42, -v37, v35, v36
	s_delay_alu instid0(VALU_DEP_2)
	v_cmp_ge_f32_e64 s13, 0, v40
	s_delay_alu instid0(TRANS32_DEP_1) | instid1(VALU_DEP_1)
	v_dual_cndmask_b32 v35, v35, v39, s13 :: v_dual_add_nc_u32 v39, -1, v41
	s_delay_alu instid0(VALU_DEP_3) | instskip(NEXT) | instid1(VALU_DEP_1)
	v_cmp_lt_f32_e64 s13, 0, v42
	v_cndmask_b32_e64 v35, v35, v37, s13
	s_delay_alu instid0(VALU_DEP_3) | instskip(NEXT) | instid1(VALU_DEP_1)
	v_dual_add_nc_u32 v37, 1, v41 :: v_dual_fma_f32 v40, -v39, v41, v34
	v_fma_f32 v43, -v37, v41, v34
	s_delay_alu instid0(VALU_DEP_2) | instskip(NEXT) | instid1(VALU_DEP_1)
	v_cmp_ge_f32_e64 s13, 0, v40
	v_cndmask_b32_e64 v39, v41, v39, s13
	v_mul_f32_e32 v42, 0x37800000, v35
	s_delay_alu instid0(VALU_DEP_4) | instskip(NEXT) | instid1(VALU_DEP_1)
	v_cmp_lt_f32_e64 s13, 0, v43
	v_cndmask_b32_e64 v37, v39, v37, s13
	s_delay_alu instid0(VALU_DEP_3) | instskip(SKIP_1) | instid1(VALU_DEP_2)
	v_cndmask_b32_e32 v35, v35, v42, vcc_lo
	v_cmp_class_f32_e64 vcc_lo, v36, 0x260
	v_cndmask_b32_e32 v35, v35, v36, vcc_lo
	s_delay_alu instid0(VALU_DEP_1) | instskip(SKIP_3) | instid1(VALU_DEP_2)
	v_cmp_nge_f32_e32 vcc_lo, 1.0, v35
	v_cndmask_b32_e32 v12, v38, v12, vcc_lo
	v_mul_f32_e32 v36, 0x37800000, v37
	v_cmp_class_f32_e64 vcc_lo, v34, 0x260
	v_cndmask_b32_e64 v35, v37, v36, s12
	s_delay_alu instid0(VALU_DEP_1) | instskip(NEXT) | instid1(VALU_DEP_1)
	v_dual_add_f32 v36, 1.0, v12 :: v_dual_cndmask_b32 v34, v35, v34, vcc_lo
	v_cmp_nge_f32_e32 vcc_lo, 1.0, v34
	s_delay_alu instid0(VALU_DEP_2)
	v_cndmask_b32_e32 v12, v36, v12, vcc_lo
	s_cbranch_scc1 .LBB27_162
; %bb.163:
	s_delay_alu instid0(VALU_DEP_1) | instskip(NEXT) | instid1(VALU_DEP_1)
	v_mul_f32_e32 v12, 4.0, v12
	v_div_scale_f32 v33, null, 0x461c4000, 0x461c4000, v12
	s_delay_alu instid0(VALU_DEP_1) | instskip(SKIP_1) | instid1(TRANS32_DEP_1)
	v_rcp_f32_e32 v34, v33
	v_nop
	v_fma_f32 v35, -v33, v34, 1.0
	s_delay_alu instid0(VALU_DEP_1) | instskip(SKIP_1) | instid1(VALU_DEP_1)
	v_fmac_f32_e32 v34, v35, v34
	v_div_scale_f32 v35, vcc_lo, v12, 0x461c4000, v12
	v_mul_f32_e32 v36, v35, v34
	s_delay_alu instid0(VALU_DEP_1) | instskip(NEXT) | instid1(VALU_DEP_1)
	v_fma_f32 v37, -v33, v36, v35
	v_fmac_f32_e32 v36, v37, v34
	s_delay_alu instid0(VALU_DEP_1) | instskip(NEXT) | instid1(VALU_DEP_1)
	v_fma_f32 v33, -v33, v36, v35
	v_div_fmas_f32 v33, v33, v34, v36
	s_delay_alu instid0(VALU_DEP_1)
	v_div_fixup_f32 v12, v33, 0x461c4000, v12
.LBB27_164:
	s_or_b32 exec_lo, exec_lo, s15
	v_or_b32_e32 v33, 0xb00, v0
	s_delay_alu instid0(VALU_DEP_1)
	v_cmp_gt_u32_e64 s12, s46, v33
	s_and_saveexec_b32 s15, s12
	s_cbranch_execz .LBB27_168
; %bb.165:
	v_add_nc_u32_e32 v11, s35, v33
	s_movk_i32 s17, 0x2710
	s_brev_b32 s16, 12
	s_delay_alu instid0(VALU_DEP_1) | instskip(NEXT) | instid1(VALU_DEP_1)
	v_lshlrev_b32_e32 v33, 12, v11
	v_add3_u32 v11, v11, v33, 0x7ed55d16
	s_delay_alu instid0(VALU_DEP_1) | instskip(NEXT) | instid1(VALU_DEP_1)
	v_lshrrev_b32_e32 v33, 19, v11
	v_xor3_b32 v11, v11, v33, 0xc761c23c
	s_delay_alu instid0(VALU_DEP_1) | instskip(NEXT) | instid1(VALU_DEP_1)
	v_lshl_add_u32 v11, v11, 5, v11
	v_add_nc_u32_e32 v33, 0xe9f8cc1d, v11
	v_lshl_add_u32 v11, v11, 9, 0xaccf6200
	s_delay_alu instid0(VALU_DEP_1) | instskip(NEXT) | instid1(VALU_DEP_1)
	v_xor_b32_e32 v11, v33, v11
	v_lshlrev_b32_e32 v33, 3, v11
	s_delay_alu instid0(VALU_DEP_1) | instskip(NEXT) | instid1(VALU_DEP_1)
	v_add3_u32 v11, v11, v33, 0xfd7046c5
	v_lshrrev_b32_e32 v33, 16, v11
	s_delay_alu instid0(VALU_DEP_1) | instskip(NEXT) | instid1(VALU_DEP_1)
	v_xor3_b32 v11, v11, v33, 0xb55a4f09
	v_mul_hi_u32 v33, v11, 3
	s_delay_alu instid0(VALU_DEP_1) | instskip(NEXT) | instid1(VALU_DEP_1)
	v_sub_nc_u32_e32 v34, v11, v33
	v_lshrrev_b32_e32 v34, 1, v34
	s_delay_alu instid0(VALU_DEP_1) | instskip(NEXT) | instid1(VALU_DEP_1)
	v_add_nc_u32_e32 v33, v34, v33
	v_lshrrev_b32_e32 v33, 30, v33
	s_delay_alu instid0(VALU_DEP_1) | instskip(NEXT) | instid1(VALU_DEP_1)
	v_mul_lo_u32 v33, 0x7fffffff, v33
	v_sub_nc_u32_e32 v11, v11, v33
	s_delay_alu instid0(VALU_DEP_1)
	v_max_u32_e32 v33, 1, v11
	v_mov_b32_e32 v11, 0
.LBB27_166:                             ; =>This Inner Loop Header: Depth=1
	s_delay_alu instid0(VALU_DEP_2) | instskip(NEXT) | instid1(VALU_DEP_1)
	v_mul_hi_u32 v34, 0xbc8f1391, v33
	v_lshrrev_b32_e32 v34, 15, v34
	s_delay_alu instid0(VALU_DEP_1) | instskip(NEXT) | instid1(VALU_DEP_1)
	v_mul_u32_u24_e32 v35, 0xadc8, v34
	v_sub_nc_u32_e32 v33, v33, v35
	v_mul_u32_u24_e32 v34, 0xd47, v34
	s_delay_alu instid0(VALU_DEP_2) | instskip(NEXT) | instid1(VALU_DEP_2)
	v_mul_lo_u32 v33, 0xbc8f, v33
	v_xor_b32_e32 v35, 0x7fffffff, v34
	v_sub_nc_u32_e32 v36, 0, v34
	s_delay_alu instid0(VALU_DEP_3) | instskip(NEXT) | instid1(VALU_DEP_2)
	v_cmp_lt_u32_e32 vcc_lo, v33, v34
	v_cndmask_b32_e32 v34, v36, v35, vcc_lo
	s_delay_alu instid0(VALU_DEP_1) | instskip(NEXT) | instid1(VALU_DEP_1)
	v_add_nc_u32_e32 v33, v34, v33
	v_mul_hi_u32 v34, 0xbc8f1391, v33
	s_delay_alu instid0(VALU_DEP_1) | instskip(NEXT) | instid1(VALU_DEP_1)
	v_lshrrev_b32_e32 v34, 15, v34
	v_mul_u32_u24_e32 v35, 0xadc8, v34
	v_mul_u32_u24_e32 v34, 0xd47, v34
	s_delay_alu instid0(VALU_DEP_2) | instskip(NEXT) | instid1(VALU_DEP_2)
	v_sub_nc_u32_e32 v35, v33, v35
	v_xor_b32_e32 v36, 0x7fffffff, v34
	v_add_nc_u32_e32 v33, -1, v33
	s_delay_alu instid0(VALU_DEP_3) | instskip(SKIP_1) | instid1(VALU_DEP_2)
	v_mul_lo_u32 v35, 0xbc8f, v35
	v_sub_nc_u32_e32 v37, 0, v34
	v_cmp_lt_u32_e32 vcc_lo, v35, v34
	s_delay_alu instid0(VALU_DEP_2) | instskip(NEXT) | instid1(VALU_DEP_1)
	v_cndmask_b32_e32 v34, v37, v36, vcc_lo
	v_add_nc_u32_e32 v35, v34, v35
	s_delay_alu instid0(VALU_DEP_1) | instskip(NEXT) | instid1(VALU_DEP_1)
	v_mul_hi_u32 v34, 0xbc8f1391, v35
	v_lshrrev_b32_e32 v34, 15, v34
	s_delay_alu instid0(VALU_DEP_1) | instskip(SKIP_1) | instid1(VALU_DEP_2)
	v_mul_u32_u24_e32 v36, 0xadc8, v34
	v_mul_u32_u24_e32 v34, 0xd47, v34
	v_sub_nc_u32_e32 v36, v35, v36
	s_delay_alu instid0(VALU_DEP_2) | instskip(NEXT) | instid1(VALU_DEP_2)
	v_xor_b32_e32 v37, 0x7fffffff, v34
	v_mul_lo_u32 v36, 0xbc8f, v36
	v_sub_nc_u32_e32 v38, 0, v34
	s_delay_alu instid0(VALU_DEP_2) | instskip(NEXT) | instid1(VALU_DEP_2)
	v_cmp_lt_u32_e32 vcc_lo, v36, v34
	v_dual_cndmask_b32 v34, v38, v37, vcc_lo :: v_dual_add_f32 v38, 1.0, v11
	s_delay_alu instid0(VALU_DEP_1) | instskip(NEXT) | instid1(VALU_DEP_1)
	v_add_nc_u32_e32 v36, v34, v36
	v_mul_hi_u32 v34, 0xbc8f1391, v36
	s_delay_alu instid0(VALU_DEP_1) | instskip(NEXT) | instid1(VALU_DEP_1)
	v_lshrrev_b32_e32 v34, 15, v34
	v_mul_u32_u24_e32 v37, 0xadc8, v34
	v_mul_u32_u24_e32 v39, 0xd47, v34
	v_cvt_f32_u32_e32 v34, v33
	s_delay_alu instid0(VALU_DEP_3) | instskip(NEXT) | instid1(VALU_DEP_3)
	v_sub_nc_u32_e32 v37, v36, v37
	v_xor_b32_e32 v33, 0x7fffffff, v39
	v_dual_sub_nc_u32 v40, 0, v39 :: v_dual_add_nc_u32 v36, -1, v36
	s_delay_alu instid0(VALU_DEP_3) | instskip(NEXT) | instid1(VALU_DEP_2)
	v_mul_lo_u32 v37, 0xbc8f, v37
	v_cvt_f32_u32_e32 v36, v36
	s_delay_alu instid0(VALU_DEP_2) | instskip(NEXT) | instid1(VALU_DEP_4)
	v_cmp_lt_u32_e32 vcc_lo, v37, v39
	v_dual_add_nc_u32 v35, -1, v35 :: v_dual_cndmask_b32 v33, v40, v33, vcc_lo
	s_delay_alu instid0(VALU_DEP_1) | instskip(NEXT) | instid1(VALU_DEP_2)
	v_cvt_f32_u32_e32 v35, v35
	v_add_nc_u32_e32 v33, v33, v37
	s_delay_alu instid0(VALU_DEP_2) | instskip(NEXT) | instid1(VALU_DEP_1)
	v_pk_fma_f32 v[34:35], v[34:35], s[16:17], 0 op_sel_hi:[1,0,0]
	v_pk_mul_f32 v[34:35], v[34:35], v[34:35]
	s_delay_alu instid0(VALU_DEP_1) | instskip(NEXT) | instid1(VALU_DEP_1)
	v_dual_add_nc_u32 v37, -1, v33 :: v_dual_add_f32 v39, v34, v35
	v_cvt_f32_u32_e32 v37, v37
	s_delay_alu instid0(VALU_DEP_2) | instskip(NEXT) | instid1(VALU_DEP_2)
	v_cmp_gt_f32_e32 vcc_lo, 0xf800000, v39
	v_pk_fma_f32 v[34:35], v[36:37], s[16:17], 0 op_sel_hi:[1,0,0]
	s_add_co_i32 s17, s17, -2
	s_delay_alu instid0(SALU_CYCLE_1) | instskip(NEXT) | instid1(VALU_DEP_1)
	s_cmp_lg_u32 s17, 0
	v_pk_mul_f32 v[34:35], v[34:35], v[34:35]
	s_delay_alu instid0(VALU_DEP_1) | instskip(NEXT) | instid1(VALU_DEP_1)
	v_add_f32_e32 v34, v34, v35
	v_dual_mul_f32 v36, 0x4f800000, v39 :: v_dual_mul_f32 v37, 0x4f800000, v34
	s_delay_alu instid0(VALU_DEP_1) | instskip(SKIP_1) | instid1(VALU_DEP_2)
	v_cndmask_b32_e32 v36, v39, v36, vcc_lo
	v_cmp_gt_f32_e64 s13, 0xf800000, v34
	v_sqrt_f32_e32 v35, v36
	v_nop
	s_delay_alu instid0(TRANS32_DEP_1) | instskip(NEXT) | instid1(VALU_DEP_1)
	v_dual_add_nc_u32 v39, -1, v35 :: v_dual_cndmask_b32 v34, v34, v37, s13
	v_dual_add_nc_u32 v37, 1, v35 :: v_dual_fma_f32 v40, -v39, v35, v36
	s_delay_alu instid0(VALU_DEP_2) | instskip(NEXT) | instid1(VALU_DEP_1)
	v_sqrt_f32_e32 v41, v34
	v_fma_f32 v42, -v37, v35, v36
	s_delay_alu instid0(VALU_DEP_2)
	v_cmp_ge_f32_e64 s14, 0, v40
	s_delay_alu instid0(TRANS32_DEP_1) | instid1(VALU_DEP_1)
	v_dual_cndmask_b32 v35, v35, v39, s14 :: v_dual_add_nc_u32 v39, -1, v41
	s_delay_alu instid0(VALU_DEP_3) | instskip(NEXT) | instid1(VALU_DEP_1)
	v_cmp_lt_f32_e64 s14, 0, v42
	v_cndmask_b32_e64 v35, v35, v37, s14
	s_delay_alu instid0(VALU_DEP_3) | instskip(NEXT) | instid1(VALU_DEP_1)
	v_dual_add_nc_u32 v37, 1, v41 :: v_dual_fma_f32 v40, -v39, v41, v34
	v_fma_f32 v43, -v37, v41, v34
	s_delay_alu instid0(VALU_DEP_2) | instskip(NEXT) | instid1(VALU_DEP_1)
	v_cmp_ge_f32_e64 s14, 0, v40
	v_cndmask_b32_e64 v39, v41, v39, s14
	v_mul_f32_e32 v42, 0x37800000, v35
	s_delay_alu instid0(VALU_DEP_4) | instskip(NEXT) | instid1(VALU_DEP_1)
	v_cmp_lt_f32_e64 s14, 0, v43
	v_cndmask_b32_e64 v37, v39, v37, s14
	s_delay_alu instid0(VALU_DEP_3) | instskip(SKIP_1) | instid1(VALU_DEP_2)
	v_cndmask_b32_e32 v35, v35, v42, vcc_lo
	v_cmp_class_f32_e64 vcc_lo, v36, 0x260
	v_cndmask_b32_e32 v35, v35, v36, vcc_lo
	s_delay_alu instid0(VALU_DEP_1) | instskip(SKIP_2) | instid1(VALU_DEP_2)
	v_cmp_nge_f32_e32 vcc_lo, 1.0, v35
	v_dual_cndmask_b32 v11, v38, v11 :: v_dual_mul_f32 v36, 0x37800000, v37
	v_cmp_class_f32_e64 vcc_lo, v34, 0x260
	v_dual_cndmask_b32 v35, v37, v36, s13 :: v_dual_add_f32 v36, 1.0, v11
	s_delay_alu instid0(VALU_DEP_1) | instskip(NEXT) | instid1(VALU_DEP_1)
	v_cndmask_b32_e32 v34, v35, v34, vcc_lo
	v_cmp_nge_f32_e32 vcc_lo, 1.0, v34
	s_delay_alu instid0(VALU_DEP_3)
	v_cndmask_b32_e32 v11, v36, v11, vcc_lo
	s_cbranch_scc1 .LBB27_166
; %bb.167:
	s_delay_alu instid0(VALU_DEP_1) | instskip(NEXT) | instid1(VALU_DEP_1)
	v_mul_f32_e32 v11, 4.0, v11
	v_div_scale_f32 v33, null, 0x461c4000, 0x461c4000, v11
	s_delay_alu instid0(VALU_DEP_1) | instskip(SKIP_1) | instid1(TRANS32_DEP_1)
	v_rcp_f32_e32 v34, v33
	v_nop
	v_fma_f32 v35, -v33, v34, 1.0
	s_delay_alu instid0(VALU_DEP_1) | instskip(SKIP_1) | instid1(VALU_DEP_1)
	v_fmac_f32_e32 v34, v35, v34
	v_div_scale_f32 v35, vcc_lo, v11, 0x461c4000, v11
	v_mul_f32_e32 v36, v35, v34
	s_delay_alu instid0(VALU_DEP_1) | instskip(NEXT) | instid1(VALU_DEP_1)
	v_fma_f32 v37, -v33, v36, v35
	v_fmac_f32_e32 v36, v37, v34
	s_delay_alu instid0(VALU_DEP_1) | instskip(NEXT) | instid1(VALU_DEP_1)
	v_fma_f32 v33, -v33, v36, v35
	v_div_fmas_f32 v33, v33, v34, v36
	s_delay_alu instid0(VALU_DEP_1)
	v_div_fixup_f32 v11, v33, 0x461c4000, v11
.LBB27_168:
	s_or_b32 exec_lo, exec_lo, s15
	v_or_b32_e32 v33, 0xc00, v0
	s_delay_alu instid0(VALU_DEP_1)
	v_cmp_gt_u32_e64 s13, s46, v33
	s_and_saveexec_b32 s17, s13
	s_cbranch_execz .LBB27_172
; %bb.169:
	v_add_nc_u32_e32 v14, s35, v33
	s_movk_i32 s18, 0x2710
	s_brev_b32 s16, 12
	s_delay_alu instid0(VALU_DEP_1) | instskip(NEXT) | instid1(VALU_DEP_1)
	v_lshlrev_b32_e32 v33, 12, v14
	v_add3_u32 v14, v14, v33, 0x7ed55d16
	s_delay_alu instid0(VALU_DEP_1) | instskip(NEXT) | instid1(VALU_DEP_1)
	v_lshrrev_b32_e32 v33, 19, v14
	v_xor3_b32 v14, v14, v33, 0xc761c23c
	s_delay_alu instid0(VALU_DEP_1) | instskip(NEXT) | instid1(VALU_DEP_1)
	v_lshl_add_u32 v14, v14, 5, v14
	v_add_nc_u32_e32 v33, 0xe9f8cc1d, v14
	v_lshl_add_u32 v14, v14, 9, 0xaccf6200
	s_delay_alu instid0(VALU_DEP_1) | instskip(NEXT) | instid1(VALU_DEP_1)
	v_xor_b32_e32 v14, v33, v14
	v_lshlrev_b32_e32 v33, 3, v14
	s_delay_alu instid0(VALU_DEP_1) | instskip(NEXT) | instid1(VALU_DEP_1)
	v_add3_u32 v14, v14, v33, 0xfd7046c5
	v_lshrrev_b32_e32 v33, 16, v14
	s_delay_alu instid0(VALU_DEP_1) | instskip(NEXT) | instid1(VALU_DEP_1)
	v_xor3_b32 v14, v14, v33, 0xb55a4f09
	v_mul_hi_u32 v33, v14, 3
	s_delay_alu instid0(VALU_DEP_1) | instskip(NEXT) | instid1(VALU_DEP_1)
	v_sub_nc_u32_e32 v34, v14, v33
	v_lshrrev_b32_e32 v34, 1, v34
	s_delay_alu instid0(VALU_DEP_1) | instskip(NEXT) | instid1(VALU_DEP_1)
	v_add_nc_u32_e32 v33, v34, v33
	v_lshrrev_b32_e32 v33, 30, v33
	s_delay_alu instid0(VALU_DEP_1) | instskip(NEXT) | instid1(VALU_DEP_1)
	v_mul_lo_u32 v33, 0x7fffffff, v33
	v_sub_nc_u32_e32 v14, v14, v33
	s_delay_alu instid0(VALU_DEP_1)
	v_max_u32_e32 v33, 1, v14
	v_mov_b32_e32 v14, 0
.LBB27_170:                             ; =>This Inner Loop Header: Depth=1
	s_delay_alu instid0(VALU_DEP_2) | instskip(SKIP_1) | instid1(SALU_CYCLE_1)
	v_mul_hi_u32 v34, 0xbc8f1391, v33
	s_add_co_i32 s18, s18, -2
	s_cmp_lg_u32 s18, 0
	s_delay_alu instid0(VALU_DEP_1) | instskip(NEXT) | instid1(VALU_DEP_1)
	v_lshrrev_b32_e32 v34, 15, v34
	v_mul_u32_u24_e32 v35, 0xadc8, v34
	s_delay_alu instid0(VALU_DEP_1) | instskip(SKIP_1) | instid1(VALU_DEP_2)
	v_sub_nc_u32_e32 v33, v33, v35
	v_mul_u32_u24_e32 v34, 0xd47, v34
	v_mul_lo_u32 v33, 0xbc8f, v33
	s_delay_alu instid0(VALU_DEP_2) | instskip(SKIP_1) | instid1(VALU_DEP_3)
	v_xor_b32_e32 v35, 0x7fffffff, v34
	v_sub_nc_u32_e32 v36, 0, v34
	v_cmp_lt_u32_e32 vcc_lo, v33, v34
	s_delay_alu instid0(VALU_DEP_2) | instskip(NEXT) | instid1(VALU_DEP_1)
	v_cndmask_b32_e32 v34, v36, v35, vcc_lo
	v_add_nc_u32_e32 v33, v34, v33
	s_delay_alu instid0(VALU_DEP_1) | instskip(NEXT) | instid1(VALU_DEP_1)
	v_mul_hi_u32 v34, 0xbc8f1391, v33
	v_lshrrev_b32_e32 v34, 15, v34
	s_delay_alu instid0(VALU_DEP_1) | instskip(SKIP_1) | instid1(VALU_DEP_2)
	v_mul_u32_u24_e32 v35, 0xadc8, v34
	v_mul_u32_u24_e32 v34, 0xd47, v34
	v_sub_nc_u32_e32 v35, v33, v35
	s_delay_alu instid0(VALU_DEP_2) | instskip(SKIP_1) | instid1(VALU_DEP_3)
	v_xor_b32_e32 v36, 0x7fffffff, v34
	v_add_nc_u32_e32 v33, -1, v33
	v_mul_lo_u32 v35, 0xbc8f, v35
	v_sub_nc_u32_e32 v37, 0, v34
	s_delay_alu instid0(VALU_DEP_2) | instskip(NEXT) | instid1(VALU_DEP_2)
	v_cmp_lt_u32_e32 vcc_lo, v35, v34
	v_cndmask_b32_e32 v34, v37, v36, vcc_lo
	s_delay_alu instid0(VALU_DEP_1) | instskip(NEXT) | instid1(VALU_DEP_1)
	v_add_nc_u32_e32 v35, v34, v35
	v_mul_hi_u32 v34, 0xbc8f1391, v35
	s_delay_alu instid0(VALU_DEP_1) | instskip(NEXT) | instid1(VALU_DEP_1)
	v_lshrrev_b32_e32 v34, 15, v34
	v_mul_u32_u24_e32 v36, 0xadc8, v34
	v_mul_u32_u24_e32 v34, 0xd47, v34
	s_delay_alu instid0(VALU_DEP_2) | instskip(NEXT) | instid1(VALU_DEP_2)
	v_sub_nc_u32_e32 v36, v35, v36
	v_xor_b32_e32 v37, 0x7fffffff, v34
	s_delay_alu instid0(VALU_DEP_2) | instskip(SKIP_1) | instid1(VALU_DEP_2)
	v_mul_lo_u32 v36, 0xbc8f, v36
	v_sub_nc_u32_e32 v38, 0, v34
	v_cmp_lt_u32_e32 vcc_lo, v36, v34
	s_delay_alu instid0(VALU_DEP_2) | instskip(NEXT) | instid1(VALU_DEP_1)
	v_dual_cndmask_b32 v34, v38, v37, vcc_lo :: v_dual_add_f32 v38, 1.0, v14
	v_add_nc_u32_e32 v36, v34, v36
	s_delay_alu instid0(VALU_DEP_1) | instskip(NEXT) | instid1(VALU_DEP_1)
	v_mul_hi_u32 v34, 0xbc8f1391, v36
	v_lshrrev_b32_e32 v34, 15, v34
	s_delay_alu instid0(VALU_DEP_1) | instskip(SKIP_2) | instid1(VALU_DEP_3)
	v_mul_u32_u24_e32 v37, 0xadc8, v34
	v_mul_u32_u24_e32 v39, 0xd47, v34
	v_cvt_f32_u32_e32 v34, v33
	v_sub_nc_u32_e32 v37, v36, v37
	s_delay_alu instid0(VALU_DEP_3) | instskip(SKIP_1) | instid1(VALU_DEP_3)
	v_xor_b32_e32 v33, 0x7fffffff, v39
	v_dual_sub_nc_u32 v40, 0, v39 :: v_dual_add_nc_u32 v36, -1, v36
	v_mul_lo_u32 v37, 0xbc8f, v37
	s_delay_alu instid0(VALU_DEP_2) | instskip(NEXT) | instid1(VALU_DEP_2)
	v_cvt_f32_u32_e32 v36, v36
	v_cmp_lt_u32_e32 vcc_lo, v37, v39
	s_delay_alu instid0(VALU_DEP_4) | instskip(NEXT) | instid1(VALU_DEP_1)
	v_dual_add_nc_u32 v35, -1, v35 :: v_dual_cndmask_b32 v33, v40, v33, vcc_lo
	v_cvt_f32_u32_e32 v35, v35
	s_delay_alu instid0(VALU_DEP_2) | instskip(NEXT) | instid1(VALU_DEP_2)
	v_add_nc_u32_e32 v33, v33, v37
	v_pk_fma_f32 v[34:35], v[34:35], s[16:17], 0 op_sel_hi:[1,0,0]
	s_delay_alu instid0(VALU_DEP_1) | instskip(NEXT) | instid1(VALU_DEP_1)
	v_pk_mul_f32 v[34:35], v[34:35], v[34:35]
	v_dual_add_nc_u32 v37, -1, v33 :: v_dual_add_f32 v39, v34, v35
	s_delay_alu instid0(VALU_DEP_1) | instskip(NEXT) | instid1(VALU_DEP_2)
	v_cvt_f32_u32_e32 v37, v37
	v_cmp_gt_f32_e32 vcc_lo, 0xf800000, v39
	s_delay_alu instid0(VALU_DEP_2) | instskip(NEXT) | instid1(VALU_DEP_1)
	v_pk_fma_f32 v[34:35], v[36:37], s[16:17], 0 op_sel_hi:[1,0,0]
	v_pk_mul_f32 v[34:35], v[34:35], v[34:35]
	s_delay_alu instid0(VALU_DEP_1) | instskip(NEXT) | instid1(VALU_DEP_1)
	v_add_f32_e32 v34, v34, v35
	v_dual_mul_f32 v36, 0x4f800000, v39 :: v_dual_mul_f32 v37, 0x4f800000, v34
	s_delay_alu instid0(VALU_DEP_1) | instskip(SKIP_1) | instid1(VALU_DEP_2)
	v_cndmask_b32_e32 v36, v39, v36, vcc_lo
	v_cmp_gt_f32_e64 s14, 0xf800000, v34
	v_sqrt_f32_e32 v35, v36
	v_nop
	s_delay_alu instid0(TRANS32_DEP_1) | instskip(NEXT) | instid1(VALU_DEP_1)
	v_dual_add_nc_u32 v39, -1, v35 :: v_dual_cndmask_b32 v34, v34, v37, s14
	v_dual_add_nc_u32 v37, 1, v35 :: v_dual_fma_f32 v40, -v39, v35, v36
	s_delay_alu instid0(VALU_DEP_2) | instskip(NEXT) | instid1(VALU_DEP_1)
	v_sqrt_f32_e32 v41, v34
	v_fma_f32 v42, -v37, v35, v36
	s_delay_alu instid0(VALU_DEP_2)
	v_cmp_ge_f32_e64 s15, 0, v40
	s_delay_alu instid0(TRANS32_DEP_1) | instid1(VALU_DEP_1)
	v_dual_cndmask_b32 v35, v35, v39, s15 :: v_dual_add_nc_u32 v39, -1, v41
	s_delay_alu instid0(VALU_DEP_3) | instskip(NEXT) | instid1(VALU_DEP_1)
	v_cmp_lt_f32_e64 s15, 0, v42
	v_cndmask_b32_e64 v35, v35, v37, s15
	s_delay_alu instid0(VALU_DEP_3) | instskip(NEXT) | instid1(VALU_DEP_1)
	v_dual_add_nc_u32 v37, 1, v41 :: v_dual_fma_f32 v40, -v39, v41, v34
	v_fma_f32 v43, -v37, v41, v34
	s_delay_alu instid0(VALU_DEP_2) | instskip(NEXT) | instid1(VALU_DEP_1)
	v_cmp_ge_f32_e64 s15, 0, v40
	v_cndmask_b32_e64 v39, v41, v39, s15
	v_mul_f32_e32 v42, 0x37800000, v35
	s_delay_alu instid0(VALU_DEP_4) | instskip(NEXT) | instid1(VALU_DEP_1)
	v_cmp_lt_f32_e64 s15, 0, v43
	v_cndmask_b32_e64 v37, v39, v37, s15
	s_delay_alu instid0(VALU_DEP_3) | instskip(SKIP_1) | instid1(VALU_DEP_2)
	v_cndmask_b32_e32 v35, v35, v42, vcc_lo
	v_cmp_class_f32_e64 vcc_lo, v36, 0x260
	v_cndmask_b32_e32 v35, v35, v36, vcc_lo
	s_delay_alu instid0(VALU_DEP_1) | instskip(SKIP_3) | instid1(VALU_DEP_2)
	v_cmp_nge_f32_e32 vcc_lo, 1.0, v35
	v_cndmask_b32_e32 v14, v38, v14, vcc_lo
	v_mul_f32_e32 v36, 0x37800000, v37
	v_cmp_class_f32_e64 vcc_lo, v34, 0x260
	v_dual_cndmask_b32 v35, v37, v36, s14 :: v_dual_add_f32 v36, 1.0, v14
	s_delay_alu instid0(VALU_DEP_1) | instskip(NEXT) | instid1(VALU_DEP_1)
	v_cndmask_b32_e32 v34, v35, v34, vcc_lo
	v_cmp_nge_f32_e32 vcc_lo, 1.0, v34
	s_delay_alu instid0(VALU_DEP_3)
	v_cndmask_b32_e32 v14, v36, v14, vcc_lo
	s_cbranch_scc1 .LBB27_170
; %bb.171:
	s_delay_alu instid0(VALU_DEP_1) | instskip(NEXT) | instid1(VALU_DEP_1)
	v_mul_f32_e32 v14, 4.0, v14
	v_div_scale_f32 v33, null, 0x461c4000, 0x461c4000, v14
	s_delay_alu instid0(VALU_DEP_1) | instskip(SKIP_1) | instid1(TRANS32_DEP_1)
	v_rcp_f32_e32 v34, v33
	v_nop
	v_fma_f32 v35, -v33, v34, 1.0
	s_delay_alu instid0(VALU_DEP_1) | instskip(SKIP_1) | instid1(VALU_DEP_1)
	v_fmac_f32_e32 v34, v35, v34
	v_div_scale_f32 v35, vcc_lo, v14, 0x461c4000, v14
	v_mul_f32_e32 v36, v35, v34
	s_delay_alu instid0(VALU_DEP_1) | instskip(NEXT) | instid1(VALU_DEP_1)
	v_fma_f32 v37, -v33, v36, v35
	v_fmac_f32_e32 v36, v37, v34
	s_delay_alu instid0(VALU_DEP_1) | instskip(NEXT) | instid1(VALU_DEP_1)
	v_fma_f32 v33, -v33, v36, v35
	v_div_fmas_f32 v33, v33, v34, v36
	s_delay_alu instid0(VALU_DEP_1)
	v_div_fixup_f32 v14, v33, 0x461c4000, v14
.LBB27_172:
	s_or_b32 exec_lo, exec_lo, s17
	v_or_b32_e32 v33, 0xd00, v0
	s_delay_alu instid0(VALU_DEP_1)
	v_cmp_gt_u32_e64 s14, s46, v33
	s_and_saveexec_b32 s17, s14
	s_cbranch_execz .LBB27_176
; %bb.173:
	v_add_nc_u32_e32 v13, s35, v33
	s_movk_i32 s19, 0x2710
	s_brev_b32 s18, 12
	s_delay_alu instid0(VALU_DEP_1) | instskip(NEXT) | instid1(VALU_DEP_1)
	v_lshlrev_b32_e32 v33, 12, v13
	v_add3_u32 v13, v13, v33, 0x7ed55d16
	s_delay_alu instid0(VALU_DEP_1) | instskip(NEXT) | instid1(VALU_DEP_1)
	v_lshrrev_b32_e32 v33, 19, v13
	v_xor3_b32 v13, v13, v33, 0xc761c23c
	s_delay_alu instid0(VALU_DEP_1) | instskip(NEXT) | instid1(VALU_DEP_1)
	v_lshl_add_u32 v13, v13, 5, v13
	v_add_nc_u32_e32 v33, 0xe9f8cc1d, v13
	v_lshl_add_u32 v13, v13, 9, 0xaccf6200
	s_delay_alu instid0(VALU_DEP_1) | instskip(NEXT) | instid1(VALU_DEP_1)
	v_xor_b32_e32 v13, v33, v13
	v_lshlrev_b32_e32 v33, 3, v13
	s_delay_alu instid0(VALU_DEP_1) | instskip(NEXT) | instid1(VALU_DEP_1)
	v_add3_u32 v13, v13, v33, 0xfd7046c5
	v_lshrrev_b32_e32 v33, 16, v13
	s_delay_alu instid0(VALU_DEP_1) | instskip(NEXT) | instid1(VALU_DEP_1)
	v_xor3_b32 v13, v13, v33, 0xb55a4f09
	v_mul_hi_u32 v33, v13, 3
	s_delay_alu instid0(VALU_DEP_1) | instskip(NEXT) | instid1(VALU_DEP_1)
	v_sub_nc_u32_e32 v34, v13, v33
	v_lshrrev_b32_e32 v34, 1, v34
	s_delay_alu instid0(VALU_DEP_1) | instskip(NEXT) | instid1(VALU_DEP_1)
	v_add_nc_u32_e32 v33, v34, v33
	v_lshrrev_b32_e32 v33, 30, v33
	s_delay_alu instid0(VALU_DEP_1) | instskip(NEXT) | instid1(VALU_DEP_1)
	v_mul_lo_u32 v33, 0x7fffffff, v33
	v_sub_nc_u32_e32 v13, v13, v33
	s_delay_alu instid0(VALU_DEP_1)
	v_max_u32_e32 v33, 1, v13
	v_mov_b32_e32 v13, 0
.LBB27_174:                             ; =>This Inner Loop Header: Depth=1
	s_delay_alu instid0(VALU_DEP_2) | instskip(NEXT) | instid1(VALU_DEP_1)
	v_mul_hi_u32 v34, 0xbc8f1391, v33
	v_lshrrev_b32_e32 v34, 15, v34
	s_delay_alu instid0(VALU_DEP_1) | instskip(NEXT) | instid1(VALU_DEP_1)
	v_mul_u32_u24_e32 v35, 0xadc8, v34
	v_sub_nc_u32_e32 v33, v33, v35
	v_mul_u32_u24_e32 v34, 0xd47, v34
	s_delay_alu instid0(VALU_DEP_2) | instskip(NEXT) | instid1(VALU_DEP_2)
	v_mul_lo_u32 v33, 0xbc8f, v33
	v_xor_b32_e32 v35, 0x7fffffff, v34
	v_sub_nc_u32_e32 v36, 0, v34
	s_delay_alu instid0(VALU_DEP_3) | instskip(NEXT) | instid1(VALU_DEP_2)
	v_cmp_lt_u32_e32 vcc_lo, v33, v34
	v_cndmask_b32_e32 v34, v36, v35, vcc_lo
	s_delay_alu instid0(VALU_DEP_1) | instskip(NEXT) | instid1(VALU_DEP_1)
	v_add_nc_u32_e32 v33, v34, v33
	v_mul_hi_u32 v34, 0xbc8f1391, v33
	s_delay_alu instid0(VALU_DEP_1) | instskip(NEXT) | instid1(VALU_DEP_1)
	v_lshrrev_b32_e32 v34, 15, v34
	v_mul_u32_u24_e32 v35, 0xadc8, v34
	v_mul_u32_u24_e32 v34, 0xd47, v34
	s_delay_alu instid0(VALU_DEP_2) | instskip(NEXT) | instid1(VALU_DEP_2)
	v_sub_nc_u32_e32 v35, v33, v35
	v_xor_b32_e32 v36, 0x7fffffff, v34
	v_add_nc_u32_e32 v33, -1, v33
	s_delay_alu instid0(VALU_DEP_3) | instskip(SKIP_1) | instid1(VALU_DEP_2)
	v_mul_lo_u32 v35, 0xbc8f, v35
	v_sub_nc_u32_e32 v37, 0, v34
	v_cmp_lt_u32_e32 vcc_lo, v35, v34
	s_delay_alu instid0(VALU_DEP_2) | instskip(NEXT) | instid1(VALU_DEP_1)
	v_cndmask_b32_e32 v34, v37, v36, vcc_lo
	v_add_nc_u32_e32 v35, v34, v35
	s_delay_alu instid0(VALU_DEP_1) | instskip(NEXT) | instid1(VALU_DEP_1)
	v_mul_hi_u32 v34, 0xbc8f1391, v35
	v_lshrrev_b32_e32 v34, 15, v34
	s_delay_alu instid0(VALU_DEP_1) | instskip(SKIP_1) | instid1(VALU_DEP_2)
	v_mul_u32_u24_e32 v36, 0xadc8, v34
	v_mul_u32_u24_e32 v34, 0xd47, v34
	v_sub_nc_u32_e32 v36, v35, v36
	s_delay_alu instid0(VALU_DEP_2) | instskip(NEXT) | instid1(VALU_DEP_2)
	v_xor_b32_e32 v37, 0x7fffffff, v34
	v_mul_lo_u32 v36, 0xbc8f, v36
	v_sub_nc_u32_e32 v38, 0, v34
	s_delay_alu instid0(VALU_DEP_2) | instskip(NEXT) | instid1(VALU_DEP_2)
	v_cmp_lt_u32_e32 vcc_lo, v36, v34
	v_cndmask_b32_e32 v34, v38, v37, vcc_lo
	s_delay_alu instid0(VALU_DEP_1) | instskip(NEXT) | instid1(VALU_DEP_1)
	v_dual_add_f32 v38, 1.0, v13 :: v_dual_add_nc_u32 v36, v34, v36
	v_mul_hi_u32 v34, 0xbc8f1391, v36
	s_delay_alu instid0(VALU_DEP_1) | instskip(NEXT) | instid1(VALU_DEP_1)
	v_lshrrev_b32_e32 v34, 15, v34
	v_mul_u32_u24_e32 v37, 0xadc8, v34
	v_mul_u32_u24_e32 v39, 0xd47, v34
	v_cvt_f32_u32_e32 v34, v33
	s_delay_alu instid0(VALU_DEP_3) | instskip(NEXT) | instid1(VALU_DEP_3)
	v_sub_nc_u32_e32 v37, v36, v37
	v_xor_b32_e32 v33, 0x7fffffff, v39
	v_dual_sub_nc_u32 v40, 0, v39 :: v_dual_add_nc_u32 v36, -1, v36
	s_delay_alu instid0(VALU_DEP_3) | instskip(NEXT) | instid1(VALU_DEP_2)
	v_mul_lo_u32 v37, 0xbc8f, v37
	v_cvt_f32_u32_e32 v36, v36
	s_delay_alu instid0(VALU_DEP_2) | instskip(NEXT) | instid1(VALU_DEP_4)
	v_cmp_lt_u32_e32 vcc_lo, v37, v39
	v_dual_add_nc_u32 v35, -1, v35 :: v_dual_cndmask_b32 v33, v40, v33, vcc_lo
	s_delay_alu instid0(VALU_DEP_1) | instskip(NEXT) | instid1(VALU_DEP_2)
	v_cvt_f32_u32_e32 v35, v35
	v_add_nc_u32_e32 v33, v33, v37
	s_delay_alu instid0(VALU_DEP_2) | instskip(NEXT) | instid1(VALU_DEP_1)
	v_pk_fma_f32 v[34:35], v[34:35], s[18:19], 0 op_sel_hi:[1,0,0]
	v_pk_mul_f32 v[34:35], v[34:35], v[34:35]
	s_delay_alu instid0(VALU_DEP_1) | instskip(NEXT) | instid1(VALU_DEP_1)
	v_dual_add_nc_u32 v37, -1, v33 :: v_dual_add_f32 v39, v34, v35
	v_cvt_f32_u32_e32 v37, v37
	s_delay_alu instid0(VALU_DEP_2) | instskip(NEXT) | instid1(VALU_DEP_2)
	v_cmp_gt_f32_e32 vcc_lo, 0xf800000, v39
	v_pk_fma_f32 v[34:35], v[36:37], s[18:19], 0 op_sel_hi:[1,0,0]
	s_add_co_i32 s19, s19, -2
	s_delay_alu instid0(SALU_CYCLE_1) | instskip(NEXT) | instid1(VALU_DEP_1)
	s_cmp_lg_u32 s19, 0
	v_pk_mul_f32 v[34:35], v[34:35], v[34:35]
	s_delay_alu instid0(VALU_DEP_1) | instskip(NEXT) | instid1(VALU_DEP_1)
	v_add_f32_e32 v34, v34, v35
	v_dual_mul_f32 v36, 0x4f800000, v39 :: v_dual_mul_f32 v37, 0x4f800000, v34
	s_delay_alu instid0(VALU_DEP_1) | instskip(SKIP_1) | instid1(VALU_DEP_2)
	v_cndmask_b32_e32 v36, v39, v36, vcc_lo
	v_cmp_gt_f32_e64 s15, 0xf800000, v34
	v_sqrt_f32_e32 v35, v36
	v_nop
	s_delay_alu instid0(TRANS32_DEP_1) | instskip(NEXT) | instid1(VALU_DEP_1)
	v_dual_add_nc_u32 v39, -1, v35 :: v_dual_cndmask_b32 v34, v34, v37, s15
	v_dual_add_nc_u32 v37, 1, v35 :: v_dual_fma_f32 v40, -v39, v35, v36
	s_delay_alu instid0(VALU_DEP_2) | instskip(NEXT) | instid1(VALU_DEP_1)
	v_sqrt_f32_e32 v41, v34
	v_fma_f32 v42, -v37, v35, v36
	s_delay_alu instid0(VALU_DEP_2)
	v_cmp_ge_f32_e64 s16, 0, v40
	s_delay_alu instid0(TRANS32_DEP_1) | instid1(VALU_DEP_1)
	v_dual_cndmask_b32 v35, v35, v39, s16 :: v_dual_add_nc_u32 v39, -1, v41
	s_delay_alu instid0(VALU_DEP_3) | instskip(NEXT) | instid1(VALU_DEP_1)
	v_cmp_lt_f32_e64 s16, 0, v42
	v_cndmask_b32_e64 v35, v35, v37, s16
	s_delay_alu instid0(VALU_DEP_3) | instskip(NEXT) | instid1(VALU_DEP_1)
	v_dual_add_nc_u32 v37, 1, v41 :: v_dual_fma_f32 v40, -v39, v41, v34
	v_fma_f32 v43, -v37, v41, v34
	s_delay_alu instid0(VALU_DEP_2) | instskip(NEXT) | instid1(VALU_DEP_1)
	v_cmp_ge_f32_e64 s16, 0, v40
	v_cndmask_b32_e64 v39, v41, v39, s16
	v_mul_f32_e32 v42, 0x37800000, v35
	s_delay_alu instid0(VALU_DEP_4) | instskip(NEXT) | instid1(VALU_DEP_1)
	v_cmp_lt_f32_e64 s16, 0, v43
	v_cndmask_b32_e64 v37, v39, v37, s16
	s_delay_alu instid0(VALU_DEP_3) | instskip(SKIP_1) | instid1(VALU_DEP_2)
	v_cndmask_b32_e32 v35, v35, v42, vcc_lo
	v_cmp_class_f32_e64 vcc_lo, v36, 0x260
	v_dual_cndmask_b32 v35, v35, v36 :: v_dual_mul_f32 v36, 0x37800000, v37
	s_delay_alu instid0(VALU_DEP_1) | instskip(NEXT) | instid1(VALU_DEP_2)
	v_cmp_nge_f32_e32 vcc_lo, 1.0, v35
	v_dual_cndmask_b32 v35, v37, v36, s15 :: v_dual_cndmask_b32 v13, v38, v13, vcc_lo
	v_cmp_class_f32_e64 vcc_lo, v34, 0x260
	s_delay_alu instid0(VALU_DEP_1) | instskip(NEXT) | instid1(VALU_DEP_1)
	v_dual_add_f32 v36, 1.0, v13 :: v_dual_cndmask_b32 v34, v35, v34, vcc_lo
	v_cmp_nge_f32_e32 vcc_lo, 1.0, v34
	s_delay_alu instid0(VALU_DEP_2)
	v_cndmask_b32_e32 v13, v36, v13, vcc_lo
	s_cbranch_scc1 .LBB27_174
; %bb.175:
	s_delay_alu instid0(VALU_DEP_1) | instskip(NEXT) | instid1(VALU_DEP_1)
	v_mul_f32_e32 v13, 4.0, v13
	v_div_scale_f32 v33, null, 0x461c4000, 0x461c4000, v13
	s_delay_alu instid0(VALU_DEP_1) | instskip(SKIP_1) | instid1(TRANS32_DEP_1)
	v_rcp_f32_e32 v34, v33
	v_nop
	v_fma_f32 v35, -v33, v34, 1.0
	s_delay_alu instid0(VALU_DEP_1) | instskip(SKIP_1) | instid1(VALU_DEP_1)
	v_fmac_f32_e32 v34, v35, v34
	v_div_scale_f32 v35, vcc_lo, v13, 0x461c4000, v13
	v_mul_f32_e32 v36, v35, v34
	s_delay_alu instid0(VALU_DEP_1) | instskip(NEXT) | instid1(VALU_DEP_1)
	v_fma_f32 v37, -v33, v36, v35
	v_fmac_f32_e32 v36, v37, v34
	s_delay_alu instid0(VALU_DEP_1) | instskip(NEXT) | instid1(VALU_DEP_1)
	v_fma_f32 v33, -v33, v36, v35
	v_div_fmas_f32 v33, v33, v34, v36
	s_delay_alu instid0(VALU_DEP_1)
	v_div_fixup_f32 v13, v33, 0x461c4000, v13
.LBB27_176:
	s_or_b32 exec_lo, exec_lo, s17
	v_or_b32_e32 v33, 0xe00, v0
	s_delay_alu instid0(VALU_DEP_1)
	v_cmp_gt_u32_e64 s15, s46, v33
	s_and_saveexec_b32 s19, s15
	s_cbranch_execz .LBB27_180
; %bb.177:
	v_add_nc_u32_e32 v16, s35, v33
	s_movk_i32 s20, 0x2710
	s_brev_b32 s18, 12
	s_delay_alu instid0(VALU_DEP_1) | instskip(NEXT) | instid1(VALU_DEP_1)
	v_lshlrev_b32_e32 v33, 12, v16
	v_add3_u32 v16, v16, v33, 0x7ed55d16
	s_delay_alu instid0(VALU_DEP_1) | instskip(NEXT) | instid1(VALU_DEP_1)
	v_lshrrev_b32_e32 v33, 19, v16
	v_xor3_b32 v16, v16, v33, 0xc761c23c
	s_delay_alu instid0(VALU_DEP_1) | instskip(NEXT) | instid1(VALU_DEP_1)
	v_lshl_add_u32 v16, v16, 5, v16
	v_add_nc_u32_e32 v33, 0xe9f8cc1d, v16
	v_lshl_add_u32 v16, v16, 9, 0xaccf6200
	s_delay_alu instid0(VALU_DEP_1) | instskip(NEXT) | instid1(VALU_DEP_1)
	v_xor_b32_e32 v16, v33, v16
	v_lshlrev_b32_e32 v33, 3, v16
	s_delay_alu instid0(VALU_DEP_1) | instskip(NEXT) | instid1(VALU_DEP_1)
	v_add3_u32 v16, v16, v33, 0xfd7046c5
	v_lshrrev_b32_e32 v33, 16, v16
	s_delay_alu instid0(VALU_DEP_1) | instskip(NEXT) | instid1(VALU_DEP_1)
	v_xor3_b32 v16, v16, v33, 0xb55a4f09
	v_mul_hi_u32 v33, v16, 3
	s_delay_alu instid0(VALU_DEP_1) | instskip(NEXT) | instid1(VALU_DEP_1)
	v_sub_nc_u32_e32 v34, v16, v33
	v_lshrrev_b32_e32 v34, 1, v34
	s_delay_alu instid0(VALU_DEP_1) | instskip(NEXT) | instid1(VALU_DEP_1)
	v_add_nc_u32_e32 v33, v34, v33
	v_lshrrev_b32_e32 v33, 30, v33
	s_delay_alu instid0(VALU_DEP_1) | instskip(NEXT) | instid1(VALU_DEP_1)
	v_mul_lo_u32 v33, 0x7fffffff, v33
	v_sub_nc_u32_e32 v16, v16, v33
	s_delay_alu instid0(VALU_DEP_1)
	v_max_u32_e32 v33, 1, v16
	v_mov_b32_e32 v16, 0
.LBB27_178:                             ; =>This Inner Loop Header: Depth=1
	s_delay_alu instid0(VALU_DEP_2) | instskip(SKIP_1) | instid1(SALU_CYCLE_1)
	v_mul_hi_u32 v34, 0xbc8f1391, v33
	s_add_co_i32 s20, s20, -2
	s_cmp_lg_u32 s20, 0
	s_delay_alu instid0(VALU_DEP_1) | instskip(NEXT) | instid1(VALU_DEP_1)
	v_lshrrev_b32_e32 v34, 15, v34
	v_mul_u32_u24_e32 v35, 0xadc8, v34
	s_delay_alu instid0(VALU_DEP_1) | instskip(SKIP_1) | instid1(VALU_DEP_2)
	v_sub_nc_u32_e32 v33, v33, v35
	v_mul_u32_u24_e32 v34, 0xd47, v34
	v_mul_lo_u32 v33, 0xbc8f, v33
	s_delay_alu instid0(VALU_DEP_2) | instskip(SKIP_1) | instid1(VALU_DEP_3)
	v_xor_b32_e32 v35, 0x7fffffff, v34
	v_sub_nc_u32_e32 v36, 0, v34
	v_cmp_lt_u32_e32 vcc_lo, v33, v34
	s_delay_alu instid0(VALU_DEP_2) | instskip(NEXT) | instid1(VALU_DEP_1)
	v_cndmask_b32_e32 v34, v36, v35, vcc_lo
	v_add_nc_u32_e32 v33, v34, v33
	s_delay_alu instid0(VALU_DEP_1) | instskip(NEXT) | instid1(VALU_DEP_1)
	v_mul_hi_u32 v34, 0xbc8f1391, v33
	v_lshrrev_b32_e32 v34, 15, v34
	s_delay_alu instid0(VALU_DEP_1) | instskip(SKIP_1) | instid1(VALU_DEP_2)
	v_mul_u32_u24_e32 v35, 0xadc8, v34
	v_mul_u32_u24_e32 v34, 0xd47, v34
	v_sub_nc_u32_e32 v35, v33, v35
	s_delay_alu instid0(VALU_DEP_2) | instskip(SKIP_1) | instid1(VALU_DEP_3)
	v_xor_b32_e32 v36, 0x7fffffff, v34
	v_add_nc_u32_e32 v33, -1, v33
	v_mul_lo_u32 v35, 0xbc8f, v35
	v_sub_nc_u32_e32 v37, 0, v34
	s_delay_alu instid0(VALU_DEP_2) | instskip(NEXT) | instid1(VALU_DEP_2)
	v_cmp_lt_u32_e32 vcc_lo, v35, v34
	v_cndmask_b32_e32 v34, v37, v36, vcc_lo
	s_delay_alu instid0(VALU_DEP_1) | instskip(NEXT) | instid1(VALU_DEP_1)
	v_add_nc_u32_e32 v35, v34, v35
	v_mul_hi_u32 v34, 0xbc8f1391, v35
	s_delay_alu instid0(VALU_DEP_1) | instskip(NEXT) | instid1(VALU_DEP_1)
	v_lshrrev_b32_e32 v34, 15, v34
	v_mul_u32_u24_e32 v36, 0xadc8, v34
	v_mul_u32_u24_e32 v34, 0xd47, v34
	s_delay_alu instid0(VALU_DEP_2) | instskip(NEXT) | instid1(VALU_DEP_2)
	v_sub_nc_u32_e32 v36, v35, v36
	v_xor_b32_e32 v37, 0x7fffffff, v34
	s_delay_alu instid0(VALU_DEP_2) | instskip(SKIP_1) | instid1(VALU_DEP_2)
	v_mul_lo_u32 v36, 0xbc8f, v36
	v_sub_nc_u32_e32 v38, 0, v34
	v_cmp_lt_u32_e32 vcc_lo, v36, v34
	s_delay_alu instid0(VALU_DEP_2) | instskip(NEXT) | instid1(VALU_DEP_1)
	v_dual_cndmask_b32 v34, v38, v37, vcc_lo :: v_dual_add_f32 v38, 1.0, v16
	v_add_nc_u32_e32 v36, v34, v36
	s_delay_alu instid0(VALU_DEP_1) | instskip(NEXT) | instid1(VALU_DEP_1)
	v_mul_hi_u32 v34, 0xbc8f1391, v36
	v_lshrrev_b32_e32 v34, 15, v34
	s_delay_alu instid0(VALU_DEP_1) | instskip(SKIP_2) | instid1(VALU_DEP_3)
	v_mul_u32_u24_e32 v37, 0xadc8, v34
	v_mul_u32_u24_e32 v39, 0xd47, v34
	v_cvt_f32_u32_e32 v34, v33
	v_sub_nc_u32_e32 v37, v36, v37
	s_delay_alu instid0(VALU_DEP_3) | instskip(SKIP_1) | instid1(VALU_DEP_3)
	v_xor_b32_e32 v33, 0x7fffffff, v39
	v_dual_sub_nc_u32 v40, 0, v39 :: v_dual_add_nc_u32 v36, -1, v36
	v_mul_lo_u32 v37, 0xbc8f, v37
	s_delay_alu instid0(VALU_DEP_2) | instskip(NEXT) | instid1(VALU_DEP_2)
	v_cvt_f32_u32_e32 v36, v36
	v_cmp_lt_u32_e32 vcc_lo, v37, v39
	s_delay_alu instid0(VALU_DEP_4) | instskip(NEXT) | instid1(VALU_DEP_1)
	v_dual_add_nc_u32 v35, -1, v35 :: v_dual_cndmask_b32 v33, v40, v33, vcc_lo
	v_cvt_f32_u32_e32 v35, v35
	s_delay_alu instid0(VALU_DEP_2) | instskip(NEXT) | instid1(VALU_DEP_2)
	v_add_nc_u32_e32 v33, v33, v37
	v_pk_fma_f32 v[34:35], v[34:35], s[18:19], 0 op_sel_hi:[1,0,0]
	s_delay_alu instid0(VALU_DEP_1) | instskip(NEXT) | instid1(VALU_DEP_1)
	v_pk_mul_f32 v[34:35], v[34:35], v[34:35]
	v_dual_add_nc_u32 v37, -1, v33 :: v_dual_add_f32 v39, v34, v35
	s_delay_alu instid0(VALU_DEP_1) | instskip(NEXT) | instid1(VALU_DEP_2)
	v_cvt_f32_u32_e32 v37, v37
	v_cmp_gt_f32_e32 vcc_lo, 0xf800000, v39
	s_delay_alu instid0(VALU_DEP_2) | instskip(NEXT) | instid1(VALU_DEP_1)
	v_pk_fma_f32 v[34:35], v[36:37], s[18:19], 0 op_sel_hi:[1,0,0]
	v_pk_mul_f32 v[34:35], v[34:35], v[34:35]
	s_delay_alu instid0(VALU_DEP_1) | instskip(NEXT) | instid1(VALU_DEP_1)
	v_add_f32_e32 v34, v34, v35
	v_dual_mul_f32 v36, 0x4f800000, v39 :: v_dual_mul_f32 v37, 0x4f800000, v34
	s_delay_alu instid0(VALU_DEP_1) | instskip(SKIP_1) | instid1(VALU_DEP_2)
	v_cndmask_b32_e32 v36, v39, v36, vcc_lo
	v_cmp_gt_f32_e64 s16, 0xf800000, v34
	v_sqrt_f32_e32 v35, v36
	v_nop
	s_delay_alu instid0(TRANS32_DEP_1) | instskip(NEXT) | instid1(VALU_DEP_1)
	v_dual_add_nc_u32 v39, -1, v35 :: v_dual_cndmask_b32 v34, v34, v37, s16
	v_dual_add_nc_u32 v37, 1, v35 :: v_dual_fma_f32 v40, -v39, v35, v36
	s_delay_alu instid0(VALU_DEP_2) | instskip(NEXT) | instid1(VALU_DEP_1)
	v_sqrt_f32_e32 v41, v34
	v_fma_f32 v42, -v37, v35, v36
	s_delay_alu instid0(VALU_DEP_2)
	v_cmp_ge_f32_e64 s17, 0, v40
	s_delay_alu instid0(TRANS32_DEP_1) | instid1(VALU_DEP_1)
	v_dual_cndmask_b32 v35, v35, v39, s17 :: v_dual_add_nc_u32 v39, -1, v41
	s_delay_alu instid0(VALU_DEP_3) | instskip(NEXT) | instid1(VALU_DEP_1)
	v_cmp_lt_f32_e64 s17, 0, v42
	v_cndmask_b32_e64 v35, v35, v37, s17
	s_delay_alu instid0(VALU_DEP_3) | instskip(NEXT) | instid1(VALU_DEP_1)
	v_dual_add_nc_u32 v37, 1, v41 :: v_dual_fma_f32 v40, -v39, v41, v34
	v_fma_f32 v43, -v37, v41, v34
	s_delay_alu instid0(VALU_DEP_2) | instskip(NEXT) | instid1(VALU_DEP_1)
	v_cmp_ge_f32_e64 s17, 0, v40
	v_cndmask_b32_e64 v39, v41, v39, s17
	v_mul_f32_e32 v42, 0x37800000, v35
	s_delay_alu instid0(VALU_DEP_4) | instskip(NEXT) | instid1(VALU_DEP_1)
	v_cmp_lt_f32_e64 s17, 0, v43
	v_cndmask_b32_e64 v37, v39, v37, s17
	s_delay_alu instid0(VALU_DEP_3) | instskip(SKIP_1) | instid1(VALU_DEP_2)
	v_cndmask_b32_e32 v35, v35, v42, vcc_lo
	v_cmp_class_f32_e64 vcc_lo, v36, 0x260
	v_cndmask_b32_e32 v35, v35, v36, vcc_lo
	s_delay_alu instid0(VALU_DEP_1) | instskip(SKIP_3) | instid1(VALU_DEP_2)
	v_cmp_nge_f32_e32 vcc_lo, 1.0, v35
	v_cndmask_b32_e32 v16, v38, v16, vcc_lo
	v_mul_f32_e32 v36, 0x37800000, v37
	v_cmp_class_f32_e64 vcc_lo, v34, 0x260
	v_cndmask_b32_e64 v35, v37, v36, s16
	s_delay_alu instid0(VALU_DEP_1) | instskip(NEXT) | instid1(VALU_DEP_1)
	v_dual_add_f32 v36, 1.0, v16 :: v_dual_cndmask_b32 v34, v35, v34, vcc_lo
	v_cmp_nge_f32_e32 vcc_lo, 1.0, v34
	s_delay_alu instid0(VALU_DEP_2)
	v_cndmask_b32_e32 v16, v36, v16, vcc_lo
	s_cbranch_scc1 .LBB27_178
; %bb.179:
	s_delay_alu instid0(VALU_DEP_1) | instskip(NEXT) | instid1(VALU_DEP_1)
	v_mul_f32_e32 v16, 4.0, v16
	v_div_scale_f32 v33, null, 0x461c4000, 0x461c4000, v16
	s_delay_alu instid0(VALU_DEP_1) | instskip(SKIP_1) | instid1(TRANS32_DEP_1)
	v_rcp_f32_e32 v34, v33
	v_nop
	v_fma_f32 v35, -v33, v34, 1.0
	s_delay_alu instid0(VALU_DEP_1) | instskip(SKIP_1) | instid1(VALU_DEP_1)
	v_fmac_f32_e32 v34, v35, v34
	v_div_scale_f32 v35, vcc_lo, v16, 0x461c4000, v16
	v_mul_f32_e32 v36, v35, v34
	s_delay_alu instid0(VALU_DEP_1) | instskip(NEXT) | instid1(VALU_DEP_1)
	v_fma_f32 v37, -v33, v36, v35
	v_fmac_f32_e32 v36, v37, v34
	s_delay_alu instid0(VALU_DEP_1) | instskip(NEXT) | instid1(VALU_DEP_1)
	v_fma_f32 v33, -v33, v36, v35
	v_div_fmas_f32 v33, v33, v34, v36
	s_delay_alu instid0(VALU_DEP_1)
	v_div_fixup_f32 v16, v33, 0x461c4000, v16
.LBB27_180:
	s_or_b32 exec_lo, exec_lo, s19
	v_or_b32_e32 v33, 0xf00, v0
	s_delay_alu instid0(VALU_DEP_1)
	v_cmp_gt_u32_e64 s16, s46, v33
	s_and_saveexec_b32 s19, s16
	s_cbranch_execz .LBB27_184
; %bb.181:
	v_add_nc_u32_e32 v15, s35, v33
	s_movk_i32 s21, 0x2710
	s_brev_b32 s20, 12
	s_delay_alu instid0(VALU_DEP_1) | instskip(NEXT) | instid1(VALU_DEP_1)
	v_lshlrev_b32_e32 v33, 12, v15
	v_add3_u32 v15, v15, v33, 0x7ed55d16
	s_delay_alu instid0(VALU_DEP_1) | instskip(NEXT) | instid1(VALU_DEP_1)
	v_lshrrev_b32_e32 v33, 19, v15
	v_xor3_b32 v15, v15, v33, 0xc761c23c
	s_delay_alu instid0(VALU_DEP_1) | instskip(NEXT) | instid1(VALU_DEP_1)
	v_lshl_add_u32 v15, v15, 5, v15
	v_add_nc_u32_e32 v33, 0xe9f8cc1d, v15
	v_lshl_add_u32 v15, v15, 9, 0xaccf6200
	s_delay_alu instid0(VALU_DEP_1) | instskip(NEXT) | instid1(VALU_DEP_1)
	v_xor_b32_e32 v15, v33, v15
	v_lshlrev_b32_e32 v33, 3, v15
	s_delay_alu instid0(VALU_DEP_1) | instskip(NEXT) | instid1(VALU_DEP_1)
	v_add3_u32 v15, v15, v33, 0xfd7046c5
	v_lshrrev_b32_e32 v33, 16, v15
	s_delay_alu instid0(VALU_DEP_1) | instskip(NEXT) | instid1(VALU_DEP_1)
	v_xor3_b32 v15, v15, v33, 0xb55a4f09
	v_mul_hi_u32 v33, v15, 3
	s_delay_alu instid0(VALU_DEP_1) | instskip(NEXT) | instid1(VALU_DEP_1)
	v_sub_nc_u32_e32 v34, v15, v33
	v_lshrrev_b32_e32 v34, 1, v34
	s_delay_alu instid0(VALU_DEP_1) | instskip(NEXT) | instid1(VALU_DEP_1)
	v_add_nc_u32_e32 v33, v34, v33
	v_lshrrev_b32_e32 v33, 30, v33
	s_delay_alu instid0(VALU_DEP_1) | instskip(NEXT) | instid1(VALU_DEP_1)
	v_mul_lo_u32 v33, 0x7fffffff, v33
	v_sub_nc_u32_e32 v15, v15, v33
	s_delay_alu instid0(VALU_DEP_1)
	v_max_u32_e32 v33, 1, v15
	v_mov_b32_e32 v15, 0
.LBB27_182:                             ; =>This Inner Loop Header: Depth=1
	s_delay_alu instid0(VALU_DEP_2) | instskip(NEXT) | instid1(VALU_DEP_1)
	v_mul_hi_u32 v34, 0xbc8f1391, v33
	v_lshrrev_b32_e32 v34, 15, v34
	s_delay_alu instid0(VALU_DEP_1) | instskip(NEXT) | instid1(VALU_DEP_1)
	v_mul_u32_u24_e32 v35, 0xadc8, v34
	v_sub_nc_u32_e32 v33, v33, v35
	v_mul_u32_u24_e32 v34, 0xd47, v34
	s_delay_alu instid0(VALU_DEP_2) | instskip(NEXT) | instid1(VALU_DEP_2)
	v_mul_lo_u32 v33, 0xbc8f, v33
	v_xor_b32_e32 v35, 0x7fffffff, v34
	v_sub_nc_u32_e32 v36, 0, v34
	s_delay_alu instid0(VALU_DEP_3) | instskip(NEXT) | instid1(VALU_DEP_2)
	v_cmp_lt_u32_e32 vcc_lo, v33, v34
	v_cndmask_b32_e32 v34, v36, v35, vcc_lo
	s_delay_alu instid0(VALU_DEP_1) | instskip(NEXT) | instid1(VALU_DEP_1)
	v_add_nc_u32_e32 v33, v34, v33
	v_mul_hi_u32 v34, 0xbc8f1391, v33
	s_delay_alu instid0(VALU_DEP_1) | instskip(NEXT) | instid1(VALU_DEP_1)
	v_lshrrev_b32_e32 v34, 15, v34
	v_mul_u32_u24_e32 v35, 0xadc8, v34
	v_mul_u32_u24_e32 v34, 0xd47, v34
	s_delay_alu instid0(VALU_DEP_2) | instskip(NEXT) | instid1(VALU_DEP_2)
	v_sub_nc_u32_e32 v35, v33, v35
	v_xor_b32_e32 v36, 0x7fffffff, v34
	v_add_nc_u32_e32 v33, -1, v33
	s_delay_alu instid0(VALU_DEP_3) | instskip(SKIP_1) | instid1(VALU_DEP_2)
	v_mul_lo_u32 v35, 0xbc8f, v35
	v_sub_nc_u32_e32 v37, 0, v34
	v_cmp_lt_u32_e32 vcc_lo, v35, v34
	s_delay_alu instid0(VALU_DEP_2) | instskip(NEXT) | instid1(VALU_DEP_1)
	v_cndmask_b32_e32 v34, v37, v36, vcc_lo
	v_add_nc_u32_e32 v35, v34, v35
	s_delay_alu instid0(VALU_DEP_1) | instskip(NEXT) | instid1(VALU_DEP_1)
	v_mul_hi_u32 v34, 0xbc8f1391, v35
	v_lshrrev_b32_e32 v34, 15, v34
	s_delay_alu instid0(VALU_DEP_1) | instskip(SKIP_1) | instid1(VALU_DEP_2)
	v_mul_u32_u24_e32 v36, 0xadc8, v34
	v_mul_u32_u24_e32 v34, 0xd47, v34
	v_sub_nc_u32_e32 v36, v35, v36
	s_delay_alu instid0(VALU_DEP_2) | instskip(NEXT) | instid1(VALU_DEP_2)
	v_xor_b32_e32 v37, 0x7fffffff, v34
	v_mul_lo_u32 v36, 0xbc8f, v36
	v_sub_nc_u32_e32 v38, 0, v34
	s_delay_alu instid0(VALU_DEP_2) | instskip(NEXT) | instid1(VALU_DEP_2)
	v_cmp_lt_u32_e32 vcc_lo, v36, v34
	v_dual_cndmask_b32 v34, v38, v37, vcc_lo :: v_dual_add_f32 v38, 1.0, v15
	s_delay_alu instid0(VALU_DEP_1) | instskip(NEXT) | instid1(VALU_DEP_1)
	v_add_nc_u32_e32 v36, v34, v36
	v_mul_hi_u32 v34, 0xbc8f1391, v36
	s_delay_alu instid0(VALU_DEP_1) | instskip(NEXT) | instid1(VALU_DEP_1)
	v_lshrrev_b32_e32 v34, 15, v34
	v_mul_u32_u24_e32 v37, 0xadc8, v34
	v_mul_u32_u24_e32 v39, 0xd47, v34
	v_cvt_f32_u32_e32 v34, v33
	s_delay_alu instid0(VALU_DEP_3) | instskip(NEXT) | instid1(VALU_DEP_3)
	v_sub_nc_u32_e32 v37, v36, v37
	v_xor_b32_e32 v33, 0x7fffffff, v39
	v_dual_sub_nc_u32 v40, 0, v39 :: v_dual_add_nc_u32 v36, -1, v36
	s_delay_alu instid0(VALU_DEP_3) | instskip(NEXT) | instid1(VALU_DEP_2)
	v_mul_lo_u32 v37, 0xbc8f, v37
	v_cvt_f32_u32_e32 v36, v36
	s_delay_alu instid0(VALU_DEP_2) | instskip(NEXT) | instid1(VALU_DEP_4)
	v_cmp_lt_u32_e32 vcc_lo, v37, v39
	v_dual_add_nc_u32 v35, -1, v35 :: v_dual_cndmask_b32 v33, v40, v33, vcc_lo
	s_delay_alu instid0(VALU_DEP_1) | instskip(NEXT) | instid1(VALU_DEP_2)
	v_cvt_f32_u32_e32 v35, v35
	v_add_nc_u32_e32 v33, v33, v37
	s_delay_alu instid0(VALU_DEP_2) | instskip(NEXT) | instid1(VALU_DEP_1)
	v_pk_fma_f32 v[34:35], v[34:35], s[20:21], 0 op_sel_hi:[1,0,0]
	v_pk_mul_f32 v[34:35], v[34:35], v[34:35]
	s_delay_alu instid0(VALU_DEP_1) | instskip(NEXT) | instid1(VALU_DEP_1)
	v_dual_add_nc_u32 v37, -1, v33 :: v_dual_add_f32 v39, v34, v35
	v_cvt_f32_u32_e32 v37, v37
	s_delay_alu instid0(VALU_DEP_2) | instskip(NEXT) | instid1(VALU_DEP_2)
	v_cmp_gt_f32_e32 vcc_lo, 0xf800000, v39
	v_pk_fma_f32 v[34:35], v[36:37], s[20:21], 0 op_sel_hi:[1,0,0]
	s_add_co_i32 s21, s21, -2
	s_delay_alu instid0(SALU_CYCLE_1) | instskip(NEXT) | instid1(VALU_DEP_1)
	s_cmp_lg_u32 s21, 0
	v_pk_mul_f32 v[34:35], v[34:35], v[34:35]
	s_delay_alu instid0(VALU_DEP_1) | instskip(NEXT) | instid1(VALU_DEP_1)
	v_add_f32_e32 v34, v34, v35
	v_dual_mul_f32 v36, 0x4f800000, v39 :: v_dual_mul_f32 v37, 0x4f800000, v34
	s_delay_alu instid0(VALU_DEP_1) | instskip(SKIP_1) | instid1(VALU_DEP_2)
	v_cndmask_b32_e32 v36, v39, v36, vcc_lo
	v_cmp_gt_f32_e64 s17, 0xf800000, v34
	v_sqrt_f32_e32 v35, v36
	v_nop
	s_delay_alu instid0(TRANS32_DEP_1) | instskip(NEXT) | instid1(VALU_DEP_1)
	v_dual_add_nc_u32 v39, -1, v35 :: v_dual_cndmask_b32 v34, v34, v37, s17
	v_dual_add_nc_u32 v37, 1, v35 :: v_dual_fma_f32 v40, -v39, v35, v36
	s_delay_alu instid0(VALU_DEP_2) | instskip(NEXT) | instid1(VALU_DEP_1)
	v_sqrt_f32_e32 v41, v34
	v_fma_f32 v42, -v37, v35, v36
	s_delay_alu instid0(VALU_DEP_2)
	v_cmp_ge_f32_e64 s18, 0, v40
	s_delay_alu instid0(TRANS32_DEP_1) | instid1(VALU_DEP_1)
	v_dual_cndmask_b32 v35, v35, v39, s18 :: v_dual_add_nc_u32 v39, -1, v41
	s_delay_alu instid0(VALU_DEP_3) | instskip(NEXT) | instid1(VALU_DEP_1)
	v_cmp_lt_f32_e64 s18, 0, v42
	v_cndmask_b32_e64 v35, v35, v37, s18
	s_delay_alu instid0(VALU_DEP_3) | instskip(NEXT) | instid1(VALU_DEP_1)
	v_dual_add_nc_u32 v37, 1, v41 :: v_dual_fma_f32 v40, -v39, v41, v34
	v_fma_f32 v43, -v37, v41, v34
	s_delay_alu instid0(VALU_DEP_2) | instskip(NEXT) | instid1(VALU_DEP_1)
	v_cmp_ge_f32_e64 s18, 0, v40
	v_cndmask_b32_e64 v39, v41, v39, s18
	v_mul_f32_e32 v42, 0x37800000, v35
	s_delay_alu instid0(VALU_DEP_4) | instskip(NEXT) | instid1(VALU_DEP_1)
	v_cmp_lt_f32_e64 s18, 0, v43
	v_cndmask_b32_e64 v37, v39, v37, s18
	s_delay_alu instid0(VALU_DEP_3) | instskip(SKIP_1) | instid1(VALU_DEP_2)
	v_cndmask_b32_e32 v35, v35, v42, vcc_lo
	v_cmp_class_f32_e64 vcc_lo, v36, 0x260
	v_cndmask_b32_e32 v35, v35, v36, vcc_lo
	s_delay_alu instid0(VALU_DEP_1) | instskip(SKIP_2) | instid1(VALU_DEP_2)
	v_cmp_nge_f32_e32 vcc_lo, 1.0, v35
	v_dual_cndmask_b32 v15, v38, v15 :: v_dual_mul_f32 v36, 0x37800000, v37
	v_cmp_class_f32_e64 vcc_lo, v34, 0x260
	v_dual_cndmask_b32 v35, v37, v36, s17 :: v_dual_add_f32 v36, 1.0, v15
	s_delay_alu instid0(VALU_DEP_1) | instskip(NEXT) | instid1(VALU_DEP_1)
	v_cndmask_b32_e32 v34, v35, v34, vcc_lo
	v_cmp_nge_f32_e32 vcc_lo, 1.0, v34
	s_delay_alu instid0(VALU_DEP_3)
	v_cndmask_b32_e32 v15, v36, v15, vcc_lo
	s_cbranch_scc1 .LBB27_182
; %bb.183:
	s_delay_alu instid0(VALU_DEP_1) | instskip(NEXT) | instid1(VALU_DEP_1)
	v_mul_f32_e32 v15, 4.0, v15
	v_div_scale_f32 v33, null, 0x461c4000, 0x461c4000, v15
	s_delay_alu instid0(VALU_DEP_1) | instskip(SKIP_1) | instid1(TRANS32_DEP_1)
	v_rcp_f32_e32 v34, v33
	v_nop
	v_fma_f32 v35, -v33, v34, 1.0
	s_delay_alu instid0(VALU_DEP_1) | instskip(SKIP_1) | instid1(VALU_DEP_1)
	v_fmac_f32_e32 v34, v35, v34
	v_div_scale_f32 v35, vcc_lo, v15, 0x461c4000, v15
	v_mul_f32_e32 v36, v35, v34
	s_delay_alu instid0(VALU_DEP_1) | instskip(NEXT) | instid1(VALU_DEP_1)
	v_fma_f32 v37, -v33, v36, v35
	v_fmac_f32_e32 v36, v37, v34
	s_delay_alu instid0(VALU_DEP_1) | instskip(NEXT) | instid1(VALU_DEP_1)
	v_fma_f32 v33, -v33, v36, v35
	v_div_fmas_f32 v33, v33, v34, v36
	s_delay_alu instid0(VALU_DEP_1)
	v_div_fixup_f32 v15, v33, 0x461c4000, v15
.LBB27_184:
	s_or_b32 exec_lo, exec_lo, s19
	v_or_b32_e32 v33, 0x1000, v0
	s_delay_alu instid0(VALU_DEP_1)
	v_cmp_gt_u32_e64 s17, s46, v33
	s_and_saveexec_b32 s21, s17
	s_cbranch_execz .LBB27_188
; %bb.185:
	v_add_nc_u32_e32 v18, s35, v33
	s_movk_i32 s22, 0x2710
	s_brev_b32 s20, 12
	s_delay_alu instid0(VALU_DEP_1) | instskip(NEXT) | instid1(VALU_DEP_1)
	v_lshlrev_b32_e32 v33, 12, v18
	v_add3_u32 v18, v18, v33, 0x7ed55d16
	s_delay_alu instid0(VALU_DEP_1) | instskip(NEXT) | instid1(VALU_DEP_1)
	v_lshrrev_b32_e32 v33, 19, v18
	v_xor3_b32 v18, v18, v33, 0xc761c23c
	s_delay_alu instid0(VALU_DEP_1) | instskip(NEXT) | instid1(VALU_DEP_1)
	v_lshl_add_u32 v18, v18, 5, v18
	v_add_nc_u32_e32 v33, 0xe9f8cc1d, v18
	v_lshl_add_u32 v18, v18, 9, 0xaccf6200
	s_delay_alu instid0(VALU_DEP_1) | instskip(NEXT) | instid1(VALU_DEP_1)
	v_xor_b32_e32 v18, v33, v18
	v_lshlrev_b32_e32 v33, 3, v18
	s_delay_alu instid0(VALU_DEP_1) | instskip(NEXT) | instid1(VALU_DEP_1)
	v_add3_u32 v18, v18, v33, 0xfd7046c5
	v_lshrrev_b32_e32 v33, 16, v18
	s_delay_alu instid0(VALU_DEP_1) | instskip(NEXT) | instid1(VALU_DEP_1)
	v_xor3_b32 v18, v18, v33, 0xb55a4f09
	v_mul_hi_u32 v33, v18, 3
	s_delay_alu instid0(VALU_DEP_1) | instskip(NEXT) | instid1(VALU_DEP_1)
	v_sub_nc_u32_e32 v34, v18, v33
	v_lshrrev_b32_e32 v34, 1, v34
	s_delay_alu instid0(VALU_DEP_1) | instskip(NEXT) | instid1(VALU_DEP_1)
	v_add_nc_u32_e32 v33, v34, v33
	v_lshrrev_b32_e32 v33, 30, v33
	s_delay_alu instid0(VALU_DEP_1) | instskip(NEXT) | instid1(VALU_DEP_1)
	v_mul_lo_u32 v33, 0x7fffffff, v33
	v_sub_nc_u32_e32 v18, v18, v33
	s_delay_alu instid0(VALU_DEP_1)
	v_max_u32_e32 v33, 1, v18
	v_mov_b32_e32 v18, 0
.LBB27_186:                             ; =>This Inner Loop Header: Depth=1
	s_delay_alu instid0(VALU_DEP_2) | instskip(SKIP_1) | instid1(SALU_CYCLE_1)
	v_mul_hi_u32 v34, 0xbc8f1391, v33
	s_add_co_i32 s22, s22, -2
	s_cmp_lg_u32 s22, 0
	s_delay_alu instid0(VALU_DEP_1) | instskip(NEXT) | instid1(VALU_DEP_1)
	v_lshrrev_b32_e32 v34, 15, v34
	v_mul_u32_u24_e32 v35, 0xadc8, v34
	s_delay_alu instid0(VALU_DEP_1) | instskip(SKIP_1) | instid1(VALU_DEP_2)
	v_sub_nc_u32_e32 v33, v33, v35
	v_mul_u32_u24_e32 v34, 0xd47, v34
	v_mul_lo_u32 v33, 0xbc8f, v33
	s_delay_alu instid0(VALU_DEP_2) | instskip(SKIP_1) | instid1(VALU_DEP_3)
	v_xor_b32_e32 v35, 0x7fffffff, v34
	v_sub_nc_u32_e32 v36, 0, v34
	v_cmp_lt_u32_e32 vcc_lo, v33, v34
	s_delay_alu instid0(VALU_DEP_2) | instskip(NEXT) | instid1(VALU_DEP_1)
	v_cndmask_b32_e32 v34, v36, v35, vcc_lo
	v_add_nc_u32_e32 v33, v34, v33
	s_delay_alu instid0(VALU_DEP_1) | instskip(NEXT) | instid1(VALU_DEP_1)
	v_mul_hi_u32 v34, 0xbc8f1391, v33
	v_lshrrev_b32_e32 v34, 15, v34
	s_delay_alu instid0(VALU_DEP_1) | instskip(SKIP_1) | instid1(VALU_DEP_2)
	v_mul_u32_u24_e32 v35, 0xadc8, v34
	v_mul_u32_u24_e32 v34, 0xd47, v34
	v_sub_nc_u32_e32 v35, v33, v35
	s_delay_alu instid0(VALU_DEP_2) | instskip(SKIP_1) | instid1(VALU_DEP_3)
	v_xor_b32_e32 v36, 0x7fffffff, v34
	v_add_nc_u32_e32 v33, -1, v33
	v_mul_lo_u32 v35, 0xbc8f, v35
	v_sub_nc_u32_e32 v37, 0, v34
	s_delay_alu instid0(VALU_DEP_2) | instskip(NEXT) | instid1(VALU_DEP_2)
	v_cmp_lt_u32_e32 vcc_lo, v35, v34
	v_cndmask_b32_e32 v34, v37, v36, vcc_lo
	s_delay_alu instid0(VALU_DEP_1) | instskip(NEXT) | instid1(VALU_DEP_1)
	v_add_nc_u32_e32 v35, v34, v35
	v_mul_hi_u32 v34, 0xbc8f1391, v35
	s_delay_alu instid0(VALU_DEP_1) | instskip(NEXT) | instid1(VALU_DEP_1)
	v_lshrrev_b32_e32 v34, 15, v34
	v_mul_u32_u24_e32 v36, 0xadc8, v34
	v_mul_u32_u24_e32 v34, 0xd47, v34
	s_delay_alu instid0(VALU_DEP_2) | instskip(NEXT) | instid1(VALU_DEP_2)
	v_sub_nc_u32_e32 v36, v35, v36
	v_xor_b32_e32 v37, 0x7fffffff, v34
	s_delay_alu instid0(VALU_DEP_2) | instskip(SKIP_1) | instid1(VALU_DEP_2)
	v_mul_lo_u32 v36, 0xbc8f, v36
	v_sub_nc_u32_e32 v38, 0, v34
	v_cmp_lt_u32_e32 vcc_lo, v36, v34
	s_delay_alu instid0(VALU_DEP_2) | instskip(NEXT) | instid1(VALU_DEP_1)
	v_dual_cndmask_b32 v34, v38, v37, vcc_lo :: v_dual_add_f32 v38, 1.0, v18
	v_add_nc_u32_e32 v36, v34, v36
	s_delay_alu instid0(VALU_DEP_1) | instskip(NEXT) | instid1(VALU_DEP_1)
	v_mul_hi_u32 v34, 0xbc8f1391, v36
	v_lshrrev_b32_e32 v34, 15, v34
	s_delay_alu instid0(VALU_DEP_1) | instskip(SKIP_2) | instid1(VALU_DEP_3)
	v_mul_u32_u24_e32 v37, 0xadc8, v34
	v_mul_u32_u24_e32 v39, 0xd47, v34
	v_cvt_f32_u32_e32 v34, v33
	v_sub_nc_u32_e32 v37, v36, v37
	s_delay_alu instid0(VALU_DEP_3) | instskip(SKIP_1) | instid1(VALU_DEP_3)
	v_xor_b32_e32 v33, 0x7fffffff, v39
	v_dual_sub_nc_u32 v40, 0, v39 :: v_dual_add_nc_u32 v36, -1, v36
	v_mul_lo_u32 v37, 0xbc8f, v37
	s_delay_alu instid0(VALU_DEP_2) | instskip(NEXT) | instid1(VALU_DEP_2)
	v_cvt_f32_u32_e32 v36, v36
	v_cmp_lt_u32_e32 vcc_lo, v37, v39
	s_delay_alu instid0(VALU_DEP_4) | instskip(NEXT) | instid1(VALU_DEP_1)
	v_dual_add_nc_u32 v35, -1, v35 :: v_dual_cndmask_b32 v33, v40, v33, vcc_lo
	v_cvt_f32_u32_e32 v35, v35
	s_delay_alu instid0(VALU_DEP_2) | instskip(NEXT) | instid1(VALU_DEP_2)
	v_add_nc_u32_e32 v33, v33, v37
	v_pk_fma_f32 v[34:35], v[34:35], s[20:21], 0 op_sel_hi:[1,0,0]
	s_delay_alu instid0(VALU_DEP_1) | instskip(NEXT) | instid1(VALU_DEP_1)
	v_pk_mul_f32 v[34:35], v[34:35], v[34:35]
	v_dual_add_nc_u32 v37, -1, v33 :: v_dual_add_f32 v39, v34, v35
	s_delay_alu instid0(VALU_DEP_1) | instskip(NEXT) | instid1(VALU_DEP_2)
	v_cvt_f32_u32_e32 v37, v37
	v_cmp_gt_f32_e32 vcc_lo, 0xf800000, v39
	s_delay_alu instid0(VALU_DEP_2) | instskip(NEXT) | instid1(VALU_DEP_1)
	v_pk_fma_f32 v[34:35], v[36:37], s[20:21], 0 op_sel_hi:[1,0,0]
	v_pk_mul_f32 v[34:35], v[34:35], v[34:35]
	s_delay_alu instid0(VALU_DEP_1) | instskip(NEXT) | instid1(VALU_DEP_1)
	v_add_f32_e32 v34, v34, v35
	v_dual_mul_f32 v36, 0x4f800000, v39 :: v_dual_mul_f32 v37, 0x4f800000, v34
	s_delay_alu instid0(VALU_DEP_1) | instskip(SKIP_1) | instid1(VALU_DEP_2)
	v_cndmask_b32_e32 v36, v39, v36, vcc_lo
	v_cmp_gt_f32_e64 s18, 0xf800000, v34
	v_sqrt_f32_e32 v35, v36
	v_nop
	s_delay_alu instid0(TRANS32_DEP_1) | instskip(NEXT) | instid1(VALU_DEP_1)
	v_dual_add_nc_u32 v39, -1, v35 :: v_dual_cndmask_b32 v34, v34, v37, s18
	v_dual_add_nc_u32 v37, 1, v35 :: v_dual_fma_f32 v40, -v39, v35, v36
	s_delay_alu instid0(VALU_DEP_2) | instskip(NEXT) | instid1(VALU_DEP_1)
	v_sqrt_f32_e32 v41, v34
	v_fma_f32 v42, -v37, v35, v36
	s_delay_alu instid0(VALU_DEP_2)
	v_cmp_ge_f32_e64 s19, 0, v40
	s_delay_alu instid0(TRANS32_DEP_1) | instid1(VALU_DEP_1)
	v_dual_cndmask_b32 v35, v35, v39, s19 :: v_dual_add_nc_u32 v39, -1, v41
	s_delay_alu instid0(VALU_DEP_3) | instskip(NEXT) | instid1(VALU_DEP_1)
	v_cmp_lt_f32_e64 s19, 0, v42
	v_cndmask_b32_e64 v35, v35, v37, s19
	s_delay_alu instid0(VALU_DEP_3) | instskip(NEXT) | instid1(VALU_DEP_1)
	v_dual_add_nc_u32 v37, 1, v41 :: v_dual_fma_f32 v40, -v39, v41, v34
	v_fma_f32 v43, -v37, v41, v34
	s_delay_alu instid0(VALU_DEP_2) | instskip(NEXT) | instid1(VALU_DEP_1)
	v_cmp_ge_f32_e64 s19, 0, v40
	v_cndmask_b32_e64 v39, v41, v39, s19
	v_mul_f32_e32 v42, 0x37800000, v35
	s_delay_alu instid0(VALU_DEP_4) | instskip(NEXT) | instid1(VALU_DEP_1)
	v_cmp_lt_f32_e64 s19, 0, v43
	v_cndmask_b32_e64 v37, v39, v37, s19
	s_delay_alu instid0(VALU_DEP_3) | instskip(SKIP_1) | instid1(VALU_DEP_2)
	v_cndmask_b32_e32 v35, v35, v42, vcc_lo
	v_cmp_class_f32_e64 vcc_lo, v36, 0x260
	v_cndmask_b32_e32 v35, v35, v36, vcc_lo
	s_delay_alu instid0(VALU_DEP_1) | instskip(SKIP_3) | instid1(VALU_DEP_2)
	v_cmp_nge_f32_e32 vcc_lo, 1.0, v35
	v_cndmask_b32_e32 v18, v38, v18, vcc_lo
	v_mul_f32_e32 v36, 0x37800000, v37
	v_cmp_class_f32_e64 vcc_lo, v34, 0x260
	v_dual_cndmask_b32 v35, v37, v36, s18 :: v_dual_add_f32 v36, 1.0, v18
	s_delay_alu instid0(VALU_DEP_1) | instskip(NEXT) | instid1(VALU_DEP_1)
	v_cndmask_b32_e32 v34, v35, v34, vcc_lo
	v_cmp_nge_f32_e32 vcc_lo, 1.0, v34
	s_delay_alu instid0(VALU_DEP_3)
	v_cndmask_b32_e32 v18, v36, v18, vcc_lo
	s_cbranch_scc1 .LBB27_186
; %bb.187:
	s_delay_alu instid0(VALU_DEP_1) | instskip(NEXT) | instid1(VALU_DEP_1)
	v_mul_f32_e32 v18, 4.0, v18
	v_div_scale_f32 v33, null, 0x461c4000, 0x461c4000, v18
	s_delay_alu instid0(VALU_DEP_1) | instskip(SKIP_1) | instid1(TRANS32_DEP_1)
	v_rcp_f32_e32 v34, v33
	v_nop
	v_fma_f32 v35, -v33, v34, 1.0
	s_delay_alu instid0(VALU_DEP_1) | instskip(SKIP_1) | instid1(VALU_DEP_1)
	v_fmac_f32_e32 v34, v35, v34
	v_div_scale_f32 v35, vcc_lo, v18, 0x461c4000, v18
	v_mul_f32_e32 v36, v35, v34
	s_delay_alu instid0(VALU_DEP_1) | instskip(NEXT) | instid1(VALU_DEP_1)
	v_fma_f32 v37, -v33, v36, v35
	v_fmac_f32_e32 v36, v37, v34
	s_delay_alu instid0(VALU_DEP_1) | instskip(NEXT) | instid1(VALU_DEP_1)
	v_fma_f32 v33, -v33, v36, v35
	v_div_fmas_f32 v33, v33, v34, v36
	s_delay_alu instid0(VALU_DEP_1)
	v_div_fixup_f32 v18, v33, 0x461c4000, v18
.LBB27_188:
	s_or_b32 exec_lo, exec_lo, s21
	v_or_b32_e32 v33, 0x1100, v0
	s_delay_alu instid0(VALU_DEP_1)
	v_cmp_gt_u32_e64 s18, s46, v33
	s_and_saveexec_b32 s21, s18
	s_cbranch_execz .LBB27_192
; %bb.189:
	v_add_nc_u32_e32 v17, s35, v33
	s_movk_i32 s23, 0x2710
	s_brev_b32 s22, 12
	s_delay_alu instid0(VALU_DEP_1) | instskip(NEXT) | instid1(VALU_DEP_1)
	v_lshlrev_b32_e32 v33, 12, v17
	v_add3_u32 v17, v17, v33, 0x7ed55d16
	s_delay_alu instid0(VALU_DEP_1) | instskip(NEXT) | instid1(VALU_DEP_1)
	v_lshrrev_b32_e32 v33, 19, v17
	v_xor3_b32 v17, v17, v33, 0xc761c23c
	s_delay_alu instid0(VALU_DEP_1) | instskip(NEXT) | instid1(VALU_DEP_1)
	v_lshl_add_u32 v17, v17, 5, v17
	v_add_nc_u32_e32 v33, 0xe9f8cc1d, v17
	v_lshl_add_u32 v17, v17, 9, 0xaccf6200
	s_delay_alu instid0(VALU_DEP_1) | instskip(NEXT) | instid1(VALU_DEP_1)
	v_xor_b32_e32 v17, v33, v17
	v_lshlrev_b32_e32 v33, 3, v17
	s_delay_alu instid0(VALU_DEP_1) | instskip(NEXT) | instid1(VALU_DEP_1)
	v_add3_u32 v17, v17, v33, 0xfd7046c5
	v_lshrrev_b32_e32 v33, 16, v17
	s_delay_alu instid0(VALU_DEP_1) | instskip(NEXT) | instid1(VALU_DEP_1)
	v_xor3_b32 v17, v17, v33, 0xb55a4f09
	v_mul_hi_u32 v33, v17, 3
	s_delay_alu instid0(VALU_DEP_1) | instskip(NEXT) | instid1(VALU_DEP_1)
	v_sub_nc_u32_e32 v34, v17, v33
	v_lshrrev_b32_e32 v34, 1, v34
	s_delay_alu instid0(VALU_DEP_1) | instskip(NEXT) | instid1(VALU_DEP_1)
	v_add_nc_u32_e32 v33, v34, v33
	v_lshrrev_b32_e32 v33, 30, v33
	s_delay_alu instid0(VALU_DEP_1) | instskip(NEXT) | instid1(VALU_DEP_1)
	v_mul_lo_u32 v33, 0x7fffffff, v33
	v_sub_nc_u32_e32 v17, v17, v33
	s_delay_alu instid0(VALU_DEP_1)
	v_max_u32_e32 v33, 1, v17
	v_mov_b32_e32 v17, 0
.LBB27_190:                             ; =>This Inner Loop Header: Depth=1
	s_delay_alu instid0(VALU_DEP_2) | instskip(NEXT) | instid1(VALU_DEP_1)
	v_mul_hi_u32 v34, 0xbc8f1391, v33
	v_lshrrev_b32_e32 v34, 15, v34
	s_delay_alu instid0(VALU_DEP_1) | instskip(NEXT) | instid1(VALU_DEP_1)
	v_mul_u32_u24_e32 v35, 0xadc8, v34
	v_sub_nc_u32_e32 v33, v33, v35
	v_mul_u32_u24_e32 v34, 0xd47, v34
	s_delay_alu instid0(VALU_DEP_2) | instskip(NEXT) | instid1(VALU_DEP_2)
	v_mul_lo_u32 v33, 0xbc8f, v33
	v_xor_b32_e32 v35, 0x7fffffff, v34
	v_sub_nc_u32_e32 v36, 0, v34
	s_delay_alu instid0(VALU_DEP_3) | instskip(NEXT) | instid1(VALU_DEP_2)
	v_cmp_lt_u32_e32 vcc_lo, v33, v34
	v_cndmask_b32_e32 v34, v36, v35, vcc_lo
	s_delay_alu instid0(VALU_DEP_1) | instskip(NEXT) | instid1(VALU_DEP_1)
	v_add_nc_u32_e32 v33, v34, v33
	v_mul_hi_u32 v34, 0xbc8f1391, v33
	s_delay_alu instid0(VALU_DEP_1) | instskip(NEXT) | instid1(VALU_DEP_1)
	v_lshrrev_b32_e32 v34, 15, v34
	v_mul_u32_u24_e32 v35, 0xadc8, v34
	v_mul_u32_u24_e32 v34, 0xd47, v34
	s_delay_alu instid0(VALU_DEP_2) | instskip(NEXT) | instid1(VALU_DEP_2)
	v_sub_nc_u32_e32 v35, v33, v35
	v_xor_b32_e32 v36, 0x7fffffff, v34
	v_add_nc_u32_e32 v33, -1, v33
	s_delay_alu instid0(VALU_DEP_3) | instskip(SKIP_1) | instid1(VALU_DEP_2)
	v_mul_lo_u32 v35, 0xbc8f, v35
	v_sub_nc_u32_e32 v37, 0, v34
	v_cmp_lt_u32_e32 vcc_lo, v35, v34
	s_delay_alu instid0(VALU_DEP_2) | instskip(NEXT) | instid1(VALU_DEP_1)
	v_cndmask_b32_e32 v34, v37, v36, vcc_lo
	v_add_nc_u32_e32 v35, v34, v35
	s_delay_alu instid0(VALU_DEP_1) | instskip(NEXT) | instid1(VALU_DEP_1)
	v_mul_hi_u32 v34, 0xbc8f1391, v35
	v_lshrrev_b32_e32 v34, 15, v34
	s_delay_alu instid0(VALU_DEP_1) | instskip(SKIP_1) | instid1(VALU_DEP_2)
	v_mul_u32_u24_e32 v36, 0xadc8, v34
	v_mul_u32_u24_e32 v34, 0xd47, v34
	v_sub_nc_u32_e32 v36, v35, v36
	s_delay_alu instid0(VALU_DEP_2) | instskip(NEXT) | instid1(VALU_DEP_2)
	v_xor_b32_e32 v37, 0x7fffffff, v34
	v_mul_lo_u32 v36, 0xbc8f, v36
	v_sub_nc_u32_e32 v38, 0, v34
	s_delay_alu instid0(VALU_DEP_2) | instskip(NEXT) | instid1(VALU_DEP_2)
	v_cmp_lt_u32_e32 vcc_lo, v36, v34
	v_cndmask_b32_e32 v34, v38, v37, vcc_lo
	s_delay_alu instid0(VALU_DEP_1) | instskip(NEXT) | instid1(VALU_DEP_1)
	v_dual_add_f32 v38, 1.0, v17 :: v_dual_add_nc_u32 v36, v34, v36
	v_mul_hi_u32 v34, 0xbc8f1391, v36
	s_delay_alu instid0(VALU_DEP_1) | instskip(NEXT) | instid1(VALU_DEP_1)
	v_lshrrev_b32_e32 v34, 15, v34
	v_mul_u32_u24_e32 v37, 0xadc8, v34
	v_mul_u32_u24_e32 v39, 0xd47, v34
	v_cvt_f32_u32_e32 v34, v33
	s_delay_alu instid0(VALU_DEP_3) | instskip(NEXT) | instid1(VALU_DEP_3)
	v_sub_nc_u32_e32 v37, v36, v37
	v_xor_b32_e32 v33, 0x7fffffff, v39
	v_dual_sub_nc_u32 v40, 0, v39 :: v_dual_add_nc_u32 v36, -1, v36
	s_delay_alu instid0(VALU_DEP_3) | instskip(NEXT) | instid1(VALU_DEP_2)
	v_mul_lo_u32 v37, 0xbc8f, v37
	v_cvt_f32_u32_e32 v36, v36
	s_delay_alu instid0(VALU_DEP_2) | instskip(NEXT) | instid1(VALU_DEP_4)
	v_cmp_lt_u32_e32 vcc_lo, v37, v39
	v_dual_add_nc_u32 v35, -1, v35 :: v_dual_cndmask_b32 v33, v40, v33, vcc_lo
	s_delay_alu instid0(VALU_DEP_1) | instskip(NEXT) | instid1(VALU_DEP_2)
	v_cvt_f32_u32_e32 v35, v35
	v_add_nc_u32_e32 v33, v33, v37
	s_delay_alu instid0(VALU_DEP_2) | instskip(NEXT) | instid1(VALU_DEP_1)
	v_pk_fma_f32 v[34:35], v[34:35], s[22:23], 0 op_sel_hi:[1,0,0]
	v_pk_mul_f32 v[34:35], v[34:35], v[34:35]
	s_delay_alu instid0(VALU_DEP_1) | instskip(NEXT) | instid1(VALU_DEP_1)
	v_dual_add_nc_u32 v37, -1, v33 :: v_dual_add_f32 v39, v34, v35
	v_cvt_f32_u32_e32 v37, v37
	s_delay_alu instid0(VALU_DEP_2) | instskip(NEXT) | instid1(VALU_DEP_2)
	v_cmp_gt_f32_e32 vcc_lo, 0xf800000, v39
	v_pk_fma_f32 v[34:35], v[36:37], s[22:23], 0 op_sel_hi:[1,0,0]
	s_add_co_i32 s23, s23, -2
	s_delay_alu instid0(SALU_CYCLE_1) | instskip(NEXT) | instid1(VALU_DEP_1)
	s_cmp_lg_u32 s23, 0
	v_pk_mul_f32 v[34:35], v[34:35], v[34:35]
	s_delay_alu instid0(VALU_DEP_1) | instskip(NEXT) | instid1(VALU_DEP_1)
	v_add_f32_e32 v34, v34, v35
	v_dual_mul_f32 v36, 0x4f800000, v39 :: v_dual_mul_f32 v37, 0x4f800000, v34
	s_delay_alu instid0(VALU_DEP_1) | instskip(SKIP_1) | instid1(VALU_DEP_2)
	v_cndmask_b32_e32 v36, v39, v36, vcc_lo
	v_cmp_gt_f32_e64 s19, 0xf800000, v34
	v_sqrt_f32_e32 v35, v36
	v_nop
	s_delay_alu instid0(TRANS32_DEP_1) | instskip(NEXT) | instid1(VALU_DEP_1)
	v_dual_add_nc_u32 v39, -1, v35 :: v_dual_cndmask_b32 v34, v34, v37, s19
	v_dual_add_nc_u32 v37, 1, v35 :: v_dual_fma_f32 v40, -v39, v35, v36
	s_delay_alu instid0(VALU_DEP_2) | instskip(NEXT) | instid1(VALU_DEP_1)
	v_sqrt_f32_e32 v41, v34
	v_fma_f32 v42, -v37, v35, v36
	s_delay_alu instid0(VALU_DEP_2)
	v_cmp_ge_f32_e64 s20, 0, v40
	s_delay_alu instid0(TRANS32_DEP_1) | instid1(VALU_DEP_1)
	v_dual_cndmask_b32 v35, v35, v39, s20 :: v_dual_add_nc_u32 v39, -1, v41
	s_delay_alu instid0(VALU_DEP_3) | instskip(NEXT) | instid1(VALU_DEP_1)
	v_cmp_lt_f32_e64 s20, 0, v42
	v_cndmask_b32_e64 v35, v35, v37, s20
	s_delay_alu instid0(VALU_DEP_3) | instskip(NEXT) | instid1(VALU_DEP_1)
	v_dual_add_nc_u32 v37, 1, v41 :: v_dual_fma_f32 v40, -v39, v41, v34
	v_fma_f32 v43, -v37, v41, v34
	s_delay_alu instid0(VALU_DEP_2) | instskip(NEXT) | instid1(VALU_DEP_1)
	v_cmp_ge_f32_e64 s20, 0, v40
	v_cndmask_b32_e64 v39, v41, v39, s20
	v_mul_f32_e32 v42, 0x37800000, v35
	s_delay_alu instid0(VALU_DEP_4) | instskip(NEXT) | instid1(VALU_DEP_1)
	v_cmp_lt_f32_e64 s20, 0, v43
	v_cndmask_b32_e64 v37, v39, v37, s20
	s_delay_alu instid0(VALU_DEP_3) | instskip(SKIP_1) | instid1(VALU_DEP_2)
	v_cndmask_b32_e32 v35, v35, v42, vcc_lo
	v_cmp_class_f32_e64 vcc_lo, v36, 0x260
	v_dual_cndmask_b32 v35, v35, v36 :: v_dual_mul_f32 v36, 0x37800000, v37
	s_delay_alu instid0(VALU_DEP_1) | instskip(NEXT) | instid1(VALU_DEP_2)
	v_cmp_nge_f32_e32 vcc_lo, 1.0, v35
	v_dual_cndmask_b32 v35, v37, v36, s19 :: v_dual_cndmask_b32 v17, v38, v17, vcc_lo
	v_cmp_class_f32_e64 vcc_lo, v34, 0x260
	s_delay_alu instid0(VALU_DEP_1) | instskip(NEXT) | instid1(VALU_DEP_1)
	v_dual_add_f32 v36, 1.0, v17 :: v_dual_cndmask_b32 v34, v35, v34, vcc_lo
	v_cmp_nge_f32_e32 vcc_lo, 1.0, v34
	s_delay_alu instid0(VALU_DEP_2)
	v_cndmask_b32_e32 v17, v36, v17, vcc_lo
	s_cbranch_scc1 .LBB27_190
; %bb.191:
	s_delay_alu instid0(VALU_DEP_1) | instskip(NEXT) | instid1(VALU_DEP_1)
	v_mul_f32_e32 v17, 4.0, v17
	v_div_scale_f32 v33, null, 0x461c4000, 0x461c4000, v17
	s_delay_alu instid0(VALU_DEP_1) | instskip(SKIP_1) | instid1(TRANS32_DEP_1)
	v_rcp_f32_e32 v34, v33
	v_nop
	v_fma_f32 v35, -v33, v34, 1.0
	s_delay_alu instid0(VALU_DEP_1) | instskip(SKIP_1) | instid1(VALU_DEP_1)
	v_fmac_f32_e32 v34, v35, v34
	v_div_scale_f32 v35, vcc_lo, v17, 0x461c4000, v17
	v_mul_f32_e32 v36, v35, v34
	s_delay_alu instid0(VALU_DEP_1) | instskip(NEXT) | instid1(VALU_DEP_1)
	v_fma_f32 v37, -v33, v36, v35
	v_fmac_f32_e32 v36, v37, v34
	s_delay_alu instid0(VALU_DEP_1) | instskip(NEXT) | instid1(VALU_DEP_1)
	v_fma_f32 v33, -v33, v36, v35
	v_div_fmas_f32 v33, v33, v34, v36
	s_delay_alu instid0(VALU_DEP_1)
	v_div_fixup_f32 v17, v33, 0x461c4000, v17
.LBB27_192:
	s_or_b32 exec_lo, exec_lo, s21
	v_or_b32_e32 v33, 0x1200, v0
	s_delay_alu instid0(VALU_DEP_1)
	v_cmp_gt_u32_e64 s19, s46, v33
	s_and_saveexec_b32 s23, s19
	s_cbranch_execz .LBB27_196
; %bb.193:
	v_add_nc_u32_e32 v20, s35, v33
	s_movk_i32 s24, 0x2710
	s_brev_b32 s22, 12
	s_delay_alu instid0(VALU_DEP_1) | instskip(NEXT) | instid1(VALU_DEP_1)
	v_lshlrev_b32_e32 v33, 12, v20
	v_add3_u32 v20, v20, v33, 0x7ed55d16
	s_delay_alu instid0(VALU_DEP_1) | instskip(NEXT) | instid1(VALU_DEP_1)
	v_lshrrev_b32_e32 v33, 19, v20
	v_xor3_b32 v20, v20, v33, 0xc761c23c
	s_delay_alu instid0(VALU_DEP_1) | instskip(NEXT) | instid1(VALU_DEP_1)
	v_lshl_add_u32 v20, v20, 5, v20
	v_add_nc_u32_e32 v33, 0xe9f8cc1d, v20
	v_lshl_add_u32 v20, v20, 9, 0xaccf6200
	s_delay_alu instid0(VALU_DEP_1) | instskip(NEXT) | instid1(VALU_DEP_1)
	v_xor_b32_e32 v20, v33, v20
	v_lshlrev_b32_e32 v33, 3, v20
	s_delay_alu instid0(VALU_DEP_1) | instskip(NEXT) | instid1(VALU_DEP_1)
	v_add3_u32 v20, v20, v33, 0xfd7046c5
	v_lshrrev_b32_e32 v33, 16, v20
	s_delay_alu instid0(VALU_DEP_1) | instskip(NEXT) | instid1(VALU_DEP_1)
	v_xor3_b32 v20, v20, v33, 0xb55a4f09
	v_mul_hi_u32 v33, v20, 3
	s_delay_alu instid0(VALU_DEP_1) | instskip(NEXT) | instid1(VALU_DEP_1)
	v_sub_nc_u32_e32 v34, v20, v33
	v_lshrrev_b32_e32 v34, 1, v34
	s_delay_alu instid0(VALU_DEP_1) | instskip(NEXT) | instid1(VALU_DEP_1)
	v_add_nc_u32_e32 v33, v34, v33
	v_lshrrev_b32_e32 v33, 30, v33
	s_delay_alu instid0(VALU_DEP_1) | instskip(NEXT) | instid1(VALU_DEP_1)
	v_mul_lo_u32 v33, 0x7fffffff, v33
	v_sub_nc_u32_e32 v20, v20, v33
	s_delay_alu instid0(VALU_DEP_1)
	v_max_u32_e32 v33, 1, v20
	v_mov_b32_e32 v20, 0
.LBB27_194:                             ; =>This Inner Loop Header: Depth=1
	s_delay_alu instid0(VALU_DEP_2) | instskip(SKIP_1) | instid1(SALU_CYCLE_1)
	v_mul_hi_u32 v34, 0xbc8f1391, v33
	s_add_co_i32 s24, s24, -2
	s_cmp_lg_u32 s24, 0
	s_delay_alu instid0(VALU_DEP_1) | instskip(NEXT) | instid1(VALU_DEP_1)
	v_lshrrev_b32_e32 v34, 15, v34
	v_mul_u32_u24_e32 v35, 0xadc8, v34
	s_delay_alu instid0(VALU_DEP_1) | instskip(SKIP_1) | instid1(VALU_DEP_2)
	v_sub_nc_u32_e32 v33, v33, v35
	v_mul_u32_u24_e32 v34, 0xd47, v34
	v_mul_lo_u32 v33, 0xbc8f, v33
	s_delay_alu instid0(VALU_DEP_2) | instskip(SKIP_1) | instid1(VALU_DEP_3)
	v_xor_b32_e32 v35, 0x7fffffff, v34
	v_sub_nc_u32_e32 v36, 0, v34
	v_cmp_lt_u32_e32 vcc_lo, v33, v34
	s_delay_alu instid0(VALU_DEP_2) | instskip(NEXT) | instid1(VALU_DEP_1)
	v_cndmask_b32_e32 v34, v36, v35, vcc_lo
	v_add_nc_u32_e32 v33, v34, v33
	s_delay_alu instid0(VALU_DEP_1) | instskip(NEXT) | instid1(VALU_DEP_1)
	v_mul_hi_u32 v34, 0xbc8f1391, v33
	v_lshrrev_b32_e32 v34, 15, v34
	s_delay_alu instid0(VALU_DEP_1) | instskip(SKIP_1) | instid1(VALU_DEP_2)
	v_mul_u32_u24_e32 v35, 0xadc8, v34
	v_mul_u32_u24_e32 v34, 0xd47, v34
	v_sub_nc_u32_e32 v35, v33, v35
	s_delay_alu instid0(VALU_DEP_2) | instskip(SKIP_1) | instid1(VALU_DEP_3)
	v_xor_b32_e32 v36, 0x7fffffff, v34
	v_add_nc_u32_e32 v33, -1, v33
	v_mul_lo_u32 v35, 0xbc8f, v35
	v_sub_nc_u32_e32 v37, 0, v34
	s_delay_alu instid0(VALU_DEP_2) | instskip(NEXT) | instid1(VALU_DEP_2)
	v_cmp_lt_u32_e32 vcc_lo, v35, v34
	v_cndmask_b32_e32 v34, v37, v36, vcc_lo
	s_delay_alu instid0(VALU_DEP_1) | instskip(NEXT) | instid1(VALU_DEP_1)
	v_add_nc_u32_e32 v35, v34, v35
	v_mul_hi_u32 v34, 0xbc8f1391, v35
	s_delay_alu instid0(VALU_DEP_1) | instskip(NEXT) | instid1(VALU_DEP_1)
	v_lshrrev_b32_e32 v34, 15, v34
	v_mul_u32_u24_e32 v36, 0xadc8, v34
	v_mul_u32_u24_e32 v34, 0xd47, v34
	s_delay_alu instid0(VALU_DEP_2) | instskip(NEXT) | instid1(VALU_DEP_2)
	v_sub_nc_u32_e32 v36, v35, v36
	v_xor_b32_e32 v37, 0x7fffffff, v34
	s_delay_alu instid0(VALU_DEP_2) | instskip(SKIP_1) | instid1(VALU_DEP_2)
	v_mul_lo_u32 v36, 0xbc8f, v36
	v_sub_nc_u32_e32 v38, 0, v34
	v_cmp_lt_u32_e32 vcc_lo, v36, v34
	s_delay_alu instid0(VALU_DEP_2) | instskip(NEXT) | instid1(VALU_DEP_1)
	v_dual_cndmask_b32 v34, v38, v37, vcc_lo :: v_dual_add_f32 v38, 1.0, v20
	v_add_nc_u32_e32 v36, v34, v36
	s_delay_alu instid0(VALU_DEP_1) | instskip(NEXT) | instid1(VALU_DEP_1)
	v_mul_hi_u32 v34, 0xbc8f1391, v36
	v_lshrrev_b32_e32 v34, 15, v34
	s_delay_alu instid0(VALU_DEP_1) | instskip(SKIP_2) | instid1(VALU_DEP_3)
	v_mul_u32_u24_e32 v37, 0xadc8, v34
	v_mul_u32_u24_e32 v39, 0xd47, v34
	v_cvt_f32_u32_e32 v34, v33
	v_sub_nc_u32_e32 v37, v36, v37
	s_delay_alu instid0(VALU_DEP_3) | instskip(SKIP_1) | instid1(VALU_DEP_3)
	v_xor_b32_e32 v33, 0x7fffffff, v39
	v_dual_sub_nc_u32 v40, 0, v39 :: v_dual_add_nc_u32 v36, -1, v36
	v_mul_lo_u32 v37, 0xbc8f, v37
	s_delay_alu instid0(VALU_DEP_2) | instskip(NEXT) | instid1(VALU_DEP_2)
	v_cvt_f32_u32_e32 v36, v36
	v_cmp_lt_u32_e32 vcc_lo, v37, v39
	s_delay_alu instid0(VALU_DEP_4) | instskip(NEXT) | instid1(VALU_DEP_1)
	v_dual_add_nc_u32 v35, -1, v35 :: v_dual_cndmask_b32 v33, v40, v33, vcc_lo
	v_cvt_f32_u32_e32 v35, v35
	s_delay_alu instid0(VALU_DEP_2) | instskip(NEXT) | instid1(VALU_DEP_2)
	v_add_nc_u32_e32 v33, v33, v37
	v_pk_fma_f32 v[34:35], v[34:35], s[22:23], 0 op_sel_hi:[1,0,0]
	s_delay_alu instid0(VALU_DEP_1) | instskip(NEXT) | instid1(VALU_DEP_1)
	v_pk_mul_f32 v[34:35], v[34:35], v[34:35]
	v_dual_add_nc_u32 v37, -1, v33 :: v_dual_add_f32 v39, v34, v35
	s_delay_alu instid0(VALU_DEP_1) | instskip(NEXT) | instid1(VALU_DEP_2)
	v_cvt_f32_u32_e32 v37, v37
	v_cmp_gt_f32_e32 vcc_lo, 0xf800000, v39
	s_delay_alu instid0(VALU_DEP_2) | instskip(NEXT) | instid1(VALU_DEP_1)
	v_pk_fma_f32 v[34:35], v[36:37], s[22:23], 0 op_sel_hi:[1,0,0]
	v_pk_mul_f32 v[34:35], v[34:35], v[34:35]
	s_delay_alu instid0(VALU_DEP_1) | instskip(NEXT) | instid1(VALU_DEP_1)
	v_add_f32_e32 v34, v34, v35
	v_dual_mul_f32 v36, 0x4f800000, v39 :: v_dual_mul_f32 v37, 0x4f800000, v34
	s_delay_alu instid0(VALU_DEP_1) | instskip(SKIP_1) | instid1(VALU_DEP_2)
	v_cndmask_b32_e32 v36, v39, v36, vcc_lo
	v_cmp_gt_f32_e64 s20, 0xf800000, v34
	v_sqrt_f32_e32 v35, v36
	v_nop
	s_delay_alu instid0(TRANS32_DEP_1) | instskip(NEXT) | instid1(VALU_DEP_1)
	v_dual_add_nc_u32 v39, -1, v35 :: v_dual_cndmask_b32 v34, v34, v37, s20
	v_dual_add_nc_u32 v37, 1, v35 :: v_dual_fma_f32 v40, -v39, v35, v36
	s_delay_alu instid0(VALU_DEP_2) | instskip(NEXT) | instid1(VALU_DEP_1)
	v_sqrt_f32_e32 v41, v34
	v_fma_f32 v42, -v37, v35, v36
	s_delay_alu instid0(VALU_DEP_2)
	v_cmp_ge_f32_e64 s21, 0, v40
	s_delay_alu instid0(TRANS32_DEP_1) | instid1(VALU_DEP_1)
	v_dual_cndmask_b32 v35, v35, v39, s21 :: v_dual_add_nc_u32 v39, -1, v41
	s_delay_alu instid0(VALU_DEP_3) | instskip(NEXT) | instid1(VALU_DEP_1)
	v_cmp_lt_f32_e64 s21, 0, v42
	v_cndmask_b32_e64 v35, v35, v37, s21
	s_delay_alu instid0(VALU_DEP_3) | instskip(NEXT) | instid1(VALU_DEP_1)
	v_dual_add_nc_u32 v37, 1, v41 :: v_dual_fma_f32 v40, -v39, v41, v34
	v_fma_f32 v43, -v37, v41, v34
	s_delay_alu instid0(VALU_DEP_2) | instskip(NEXT) | instid1(VALU_DEP_1)
	v_cmp_ge_f32_e64 s21, 0, v40
	v_cndmask_b32_e64 v39, v41, v39, s21
	v_mul_f32_e32 v42, 0x37800000, v35
	s_delay_alu instid0(VALU_DEP_4) | instskip(NEXT) | instid1(VALU_DEP_1)
	v_cmp_lt_f32_e64 s21, 0, v43
	v_cndmask_b32_e64 v37, v39, v37, s21
	s_delay_alu instid0(VALU_DEP_3) | instskip(SKIP_1) | instid1(VALU_DEP_2)
	v_cndmask_b32_e32 v35, v35, v42, vcc_lo
	v_cmp_class_f32_e64 vcc_lo, v36, 0x260
	v_cndmask_b32_e32 v35, v35, v36, vcc_lo
	s_delay_alu instid0(VALU_DEP_1) | instskip(SKIP_3) | instid1(VALU_DEP_2)
	v_cmp_nge_f32_e32 vcc_lo, 1.0, v35
	v_cndmask_b32_e32 v20, v38, v20, vcc_lo
	v_mul_f32_e32 v36, 0x37800000, v37
	v_cmp_class_f32_e64 vcc_lo, v34, 0x260
	v_cndmask_b32_e64 v35, v37, v36, s20
	s_delay_alu instid0(VALU_DEP_1) | instskip(NEXT) | instid1(VALU_DEP_1)
	v_dual_add_f32 v36, 1.0, v20 :: v_dual_cndmask_b32 v34, v35, v34, vcc_lo
	v_cmp_nge_f32_e32 vcc_lo, 1.0, v34
	s_delay_alu instid0(VALU_DEP_2)
	v_cndmask_b32_e32 v20, v36, v20, vcc_lo
	s_cbranch_scc1 .LBB27_194
; %bb.195:
	s_delay_alu instid0(VALU_DEP_1) | instskip(NEXT) | instid1(VALU_DEP_1)
	v_mul_f32_e32 v20, 4.0, v20
	v_div_scale_f32 v33, null, 0x461c4000, 0x461c4000, v20
	s_delay_alu instid0(VALU_DEP_1) | instskip(SKIP_1) | instid1(TRANS32_DEP_1)
	v_rcp_f32_e32 v34, v33
	v_nop
	v_fma_f32 v35, -v33, v34, 1.0
	s_delay_alu instid0(VALU_DEP_1) | instskip(SKIP_1) | instid1(VALU_DEP_1)
	v_fmac_f32_e32 v34, v35, v34
	v_div_scale_f32 v35, vcc_lo, v20, 0x461c4000, v20
	v_mul_f32_e32 v36, v35, v34
	s_delay_alu instid0(VALU_DEP_1) | instskip(NEXT) | instid1(VALU_DEP_1)
	v_fma_f32 v37, -v33, v36, v35
	v_fmac_f32_e32 v36, v37, v34
	s_delay_alu instid0(VALU_DEP_1) | instskip(NEXT) | instid1(VALU_DEP_1)
	v_fma_f32 v33, -v33, v36, v35
	v_div_fmas_f32 v33, v33, v34, v36
	s_delay_alu instid0(VALU_DEP_1)
	v_div_fixup_f32 v20, v33, 0x461c4000, v20
.LBB27_196:
	s_or_b32 exec_lo, exec_lo, s23
	v_or_b32_e32 v33, 0x1300, v0
	s_delay_alu instid0(VALU_DEP_1)
	v_cmp_gt_u32_e64 s20, s46, v33
	s_and_saveexec_b32 s23, s20
	s_cbranch_execz .LBB27_200
; %bb.197:
	v_add_nc_u32_e32 v19, s35, v33
	s_movk_i32 s25, 0x2710
	s_brev_b32 s24, 12
	s_delay_alu instid0(VALU_DEP_1) | instskip(NEXT) | instid1(VALU_DEP_1)
	v_lshlrev_b32_e32 v33, 12, v19
	v_add3_u32 v19, v19, v33, 0x7ed55d16
	s_delay_alu instid0(VALU_DEP_1) | instskip(NEXT) | instid1(VALU_DEP_1)
	v_lshrrev_b32_e32 v33, 19, v19
	v_xor3_b32 v19, v19, v33, 0xc761c23c
	s_delay_alu instid0(VALU_DEP_1) | instskip(NEXT) | instid1(VALU_DEP_1)
	v_lshl_add_u32 v19, v19, 5, v19
	v_add_nc_u32_e32 v33, 0xe9f8cc1d, v19
	v_lshl_add_u32 v19, v19, 9, 0xaccf6200
	s_delay_alu instid0(VALU_DEP_1) | instskip(NEXT) | instid1(VALU_DEP_1)
	v_xor_b32_e32 v19, v33, v19
	v_lshlrev_b32_e32 v33, 3, v19
	s_delay_alu instid0(VALU_DEP_1) | instskip(NEXT) | instid1(VALU_DEP_1)
	v_add3_u32 v19, v19, v33, 0xfd7046c5
	v_lshrrev_b32_e32 v33, 16, v19
	s_delay_alu instid0(VALU_DEP_1) | instskip(NEXT) | instid1(VALU_DEP_1)
	v_xor3_b32 v19, v19, v33, 0xb55a4f09
	v_mul_hi_u32 v33, v19, 3
	s_delay_alu instid0(VALU_DEP_1) | instskip(NEXT) | instid1(VALU_DEP_1)
	v_sub_nc_u32_e32 v34, v19, v33
	v_lshrrev_b32_e32 v34, 1, v34
	s_delay_alu instid0(VALU_DEP_1) | instskip(NEXT) | instid1(VALU_DEP_1)
	v_add_nc_u32_e32 v33, v34, v33
	v_lshrrev_b32_e32 v33, 30, v33
	s_delay_alu instid0(VALU_DEP_1) | instskip(NEXT) | instid1(VALU_DEP_1)
	v_mul_lo_u32 v33, 0x7fffffff, v33
	v_sub_nc_u32_e32 v19, v19, v33
	s_delay_alu instid0(VALU_DEP_1)
	v_max_u32_e32 v33, 1, v19
	v_mov_b32_e32 v19, 0
.LBB27_198:                             ; =>This Inner Loop Header: Depth=1
	s_delay_alu instid0(VALU_DEP_2) | instskip(NEXT) | instid1(VALU_DEP_1)
	v_mul_hi_u32 v34, 0xbc8f1391, v33
	v_lshrrev_b32_e32 v34, 15, v34
	s_delay_alu instid0(VALU_DEP_1) | instskip(NEXT) | instid1(VALU_DEP_1)
	v_mul_u32_u24_e32 v35, 0xadc8, v34
	v_sub_nc_u32_e32 v33, v33, v35
	v_mul_u32_u24_e32 v34, 0xd47, v34
	s_delay_alu instid0(VALU_DEP_2) | instskip(NEXT) | instid1(VALU_DEP_2)
	v_mul_lo_u32 v33, 0xbc8f, v33
	v_xor_b32_e32 v35, 0x7fffffff, v34
	v_sub_nc_u32_e32 v36, 0, v34
	s_delay_alu instid0(VALU_DEP_3) | instskip(NEXT) | instid1(VALU_DEP_2)
	v_cmp_lt_u32_e32 vcc_lo, v33, v34
	v_cndmask_b32_e32 v34, v36, v35, vcc_lo
	s_delay_alu instid0(VALU_DEP_1) | instskip(NEXT) | instid1(VALU_DEP_1)
	v_add_nc_u32_e32 v33, v34, v33
	v_mul_hi_u32 v34, 0xbc8f1391, v33
	s_delay_alu instid0(VALU_DEP_1) | instskip(NEXT) | instid1(VALU_DEP_1)
	v_lshrrev_b32_e32 v34, 15, v34
	v_mul_u32_u24_e32 v35, 0xadc8, v34
	v_mul_u32_u24_e32 v34, 0xd47, v34
	s_delay_alu instid0(VALU_DEP_2) | instskip(NEXT) | instid1(VALU_DEP_2)
	v_sub_nc_u32_e32 v35, v33, v35
	v_xor_b32_e32 v36, 0x7fffffff, v34
	v_add_nc_u32_e32 v33, -1, v33
	s_delay_alu instid0(VALU_DEP_3) | instskip(SKIP_1) | instid1(VALU_DEP_2)
	v_mul_lo_u32 v35, 0xbc8f, v35
	v_sub_nc_u32_e32 v37, 0, v34
	v_cmp_lt_u32_e32 vcc_lo, v35, v34
	s_delay_alu instid0(VALU_DEP_2) | instskip(NEXT) | instid1(VALU_DEP_1)
	v_cndmask_b32_e32 v34, v37, v36, vcc_lo
	v_add_nc_u32_e32 v35, v34, v35
	s_delay_alu instid0(VALU_DEP_1) | instskip(NEXT) | instid1(VALU_DEP_1)
	v_mul_hi_u32 v34, 0xbc8f1391, v35
	v_lshrrev_b32_e32 v34, 15, v34
	s_delay_alu instid0(VALU_DEP_1) | instskip(SKIP_1) | instid1(VALU_DEP_2)
	v_mul_u32_u24_e32 v36, 0xadc8, v34
	v_mul_u32_u24_e32 v34, 0xd47, v34
	v_sub_nc_u32_e32 v36, v35, v36
	s_delay_alu instid0(VALU_DEP_2) | instskip(NEXT) | instid1(VALU_DEP_2)
	v_xor_b32_e32 v37, 0x7fffffff, v34
	v_mul_lo_u32 v36, 0xbc8f, v36
	v_sub_nc_u32_e32 v38, 0, v34
	s_delay_alu instid0(VALU_DEP_2) | instskip(NEXT) | instid1(VALU_DEP_2)
	v_cmp_lt_u32_e32 vcc_lo, v36, v34
	v_dual_cndmask_b32 v34, v38, v37, vcc_lo :: v_dual_add_f32 v38, 1.0, v19
	s_delay_alu instid0(VALU_DEP_1) | instskip(NEXT) | instid1(VALU_DEP_1)
	v_add_nc_u32_e32 v36, v34, v36
	v_mul_hi_u32 v34, 0xbc8f1391, v36
	s_delay_alu instid0(VALU_DEP_1) | instskip(NEXT) | instid1(VALU_DEP_1)
	v_lshrrev_b32_e32 v34, 15, v34
	v_mul_u32_u24_e32 v37, 0xadc8, v34
	v_mul_u32_u24_e32 v39, 0xd47, v34
	v_cvt_f32_u32_e32 v34, v33
	s_delay_alu instid0(VALU_DEP_3) | instskip(NEXT) | instid1(VALU_DEP_3)
	v_sub_nc_u32_e32 v37, v36, v37
	v_xor_b32_e32 v33, 0x7fffffff, v39
	v_dual_sub_nc_u32 v40, 0, v39 :: v_dual_add_nc_u32 v36, -1, v36
	s_delay_alu instid0(VALU_DEP_3) | instskip(NEXT) | instid1(VALU_DEP_2)
	v_mul_lo_u32 v37, 0xbc8f, v37
	v_cvt_f32_u32_e32 v36, v36
	s_delay_alu instid0(VALU_DEP_2) | instskip(NEXT) | instid1(VALU_DEP_4)
	v_cmp_lt_u32_e32 vcc_lo, v37, v39
	v_dual_add_nc_u32 v35, -1, v35 :: v_dual_cndmask_b32 v33, v40, v33, vcc_lo
	s_delay_alu instid0(VALU_DEP_1) | instskip(NEXT) | instid1(VALU_DEP_2)
	v_cvt_f32_u32_e32 v35, v35
	v_add_nc_u32_e32 v33, v33, v37
	s_delay_alu instid0(VALU_DEP_2) | instskip(NEXT) | instid1(VALU_DEP_1)
	v_pk_fma_f32 v[34:35], v[34:35], s[24:25], 0 op_sel_hi:[1,0,0]
	v_pk_mul_f32 v[34:35], v[34:35], v[34:35]
	s_delay_alu instid0(VALU_DEP_1) | instskip(NEXT) | instid1(VALU_DEP_1)
	v_dual_add_nc_u32 v37, -1, v33 :: v_dual_add_f32 v39, v34, v35
	v_cvt_f32_u32_e32 v37, v37
	s_delay_alu instid0(VALU_DEP_2) | instskip(NEXT) | instid1(VALU_DEP_2)
	v_cmp_gt_f32_e32 vcc_lo, 0xf800000, v39
	v_pk_fma_f32 v[34:35], v[36:37], s[24:25], 0 op_sel_hi:[1,0,0]
	s_add_co_i32 s25, s25, -2
	s_delay_alu instid0(SALU_CYCLE_1) | instskip(NEXT) | instid1(VALU_DEP_1)
	s_cmp_lg_u32 s25, 0
	v_pk_mul_f32 v[34:35], v[34:35], v[34:35]
	s_delay_alu instid0(VALU_DEP_1) | instskip(NEXT) | instid1(VALU_DEP_1)
	v_add_f32_e32 v34, v34, v35
	v_dual_mul_f32 v36, 0x4f800000, v39 :: v_dual_mul_f32 v37, 0x4f800000, v34
	s_delay_alu instid0(VALU_DEP_1) | instskip(SKIP_1) | instid1(VALU_DEP_2)
	v_cndmask_b32_e32 v36, v39, v36, vcc_lo
	v_cmp_gt_f32_e64 s21, 0xf800000, v34
	v_sqrt_f32_e32 v35, v36
	v_nop
	s_delay_alu instid0(TRANS32_DEP_1) | instskip(NEXT) | instid1(VALU_DEP_1)
	v_dual_add_nc_u32 v39, -1, v35 :: v_dual_cndmask_b32 v34, v34, v37, s21
	v_dual_add_nc_u32 v37, 1, v35 :: v_dual_fma_f32 v40, -v39, v35, v36
	s_delay_alu instid0(VALU_DEP_2) | instskip(NEXT) | instid1(VALU_DEP_1)
	v_sqrt_f32_e32 v41, v34
	v_fma_f32 v42, -v37, v35, v36
	s_delay_alu instid0(VALU_DEP_2)
	v_cmp_ge_f32_e64 s22, 0, v40
	s_delay_alu instid0(TRANS32_DEP_1) | instid1(VALU_DEP_1)
	v_dual_cndmask_b32 v35, v35, v39, s22 :: v_dual_add_nc_u32 v39, -1, v41
	s_delay_alu instid0(VALU_DEP_3) | instskip(NEXT) | instid1(VALU_DEP_1)
	v_cmp_lt_f32_e64 s22, 0, v42
	v_cndmask_b32_e64 v35, v35, v37, s22
	s_delay_alu instid0(VALU_DEP_3) | instskip(NEXT) | instid1(VALU_DEP_1)
	v_dual_add_nc_u32 v37, 1, v41 :: v_dual_fma_f32 v40, -v39, v41, v34
	v_fma_f32 v43, -v37, v41, v34
	s_delay_alu instid0(VALU_DEP_2) | instskip(NEXT) | instid1(VALU_DEP_1)
	v_cmp_ge_f32_e64 s22, 0, v40
	v_cndmask_b32_e64 v39, v41, v39, s22
	v_mul_f32_e32 v42, 0x37800000, v35
	s_delay_alu instid0(VALU_DEP_4) | instskip(NEXT) | instid1(VALU_DEP_1)
	v_cmp_lt_f32_e64 s22, 0, v43
	v_cndmask_b32_e64 v37, v39, v37, s22
	s_delay_alu instid0(VALU_DEP_3) | instskip(SKIP_1) | instid1(VALU_DEP_2)
	v_cndmask_b32_e32 v35, v35, v42, vcc_lo
	v_cmp_class_f32_e64 vcc_lo, v36, 0x260
	v_cndmask_b32_e32 v35, v35, v36, vcc_lo
	s_delay_alu instid0(VALU_DEP_1) | instskip(SKIP_2) | instid1(VALU_DEP_2)
	v_cmp_nge_f32_e32 vcc_lo, 1.0, v35
	v_dual_cndmask_b32 v19, v38, v19 :: v_dual_mul_f32 v36, 0x37800000, v37
	v_cmp_class_f32_e64 vcc_lo, v34, 0x260
	v_dual_cndmask_b32 v35, v37, v36, s21 :: v_dual_add_f32 v36, 1.0, v19
	s_delay_alu instid0(VALU_DEP_1) | instskip(NEXT) | instid1(VALU_DEP_1)
	v_cndmask_b32_e32 v34, v35, v34, vcc_lo
	v_cmp_nge_f32_e32 vcc_lo, 1.0, v34
	s_delay_alu instid0(VALU_DEP_3)
	v_cndmask_b32_e32 v19, v36, v19, vcc_lo
	s_cbranch_scc1 .LBB27_198
; %bb.199:
	s_delay_alu instid0(VALU_DEP_1) | instskip(NEXT) | instid1(VALU_DEP_1)
	v_mul_f32_e32 v19, 4.0, v19
	v_div_scale_f32 v33, null, 0x461c4000, 0x461c4000, v19
	s_delay_alu instid0(VALU_DEP_1) | instskip(SKIP_1) | instid1(TRANS32_DEP_1)
	v_rcp_f32_e32 v34, v33
	v_nop
	v_fma_f32 v35, -v33, v34, 1.0
	s_delay_alu instid0(VALU_DEP_1) | instskip(SKIP_1) | instid1(VALU_DEP_1)
	v_fmac_f32_e32 v34, v35, v34
	v_div_scale_f32 v35, vcc_lo, v19, 0x461c4000, v19
	v_mul_f32_e32 v36, v35, v34
	s_delay_alu instid0(VALU_DEP_1) | instskip(NEXT) | instid1(VALU_DEP_1)
	v_fma_f32 v37, -v33, v36, v35
	v_fmac_f32_e32 v36, v37, v34
	s_delay_alu instid0(VALU_DEP_1) | instskip(NEXT) | instid1(VALU_DEP_1)
	v_fma_f32 v33, -v33, v36, v35
	v_div_fmas_f32 v33, v33, v34, v36
	s_delay_alu instid0(VALU_DEP_1)
	v_div_fixup_f32 v19, v33, 0x461c4000, v19
.LBB27_200:
	s_or_b32 exec_lo, exec_lo, s23
	v_or_b32_e32 v33, 0x1400, v0
	s_delay_alu instid0(VALU_DEP_1)
	v_cmp_gt_u32_e64 s21, s46, v33
	s_and_saveexec_b32 s25, s21
	s_cbranch_execz .LBB27_204
; %bb.201:
	v_add_nc_u32_e32 v22, s35, v33
	s_movk_i32 s26, 0x2710
	s_brev_b32 s24, 12
	s_delay_alu instid0(VALU_DEP_1) | instskip(NEXT) | instid1(VALU_DEP_1)
	v_lshlrev_b32_e32 v33, 12, v22
	v_add3_u32 v22, v22, v33, 0x7ed55d16
	s_delay_alu instid0(VALU_DEP_1) | instskip(NEXT) | instid1(VALU_DEP_1)
	v_lshrrev_b32_e32 v33, 19, v22
	v_xor3_b32 v22, v22, v33, 0xc761c23c
	s_delay_alu instid0(VALU_DEP_1) | instskip(NEXT) | instid1(VALU_DEP_1)
	v_lshl_add_u32 v22, v22, 5, v22
	v_add_nc_u32_e32 v33, 0xe9f8cc1d, v22
	v_lshl_add_u32 v22, v22, 9, 0xaccf6200
	s_delay_alu instid0(VALU_DEP_1) | instskip(NEXT) | instid1(VALU_DEP_1)
	v_xor_b32_e32 v22, v33, v22
	v_lshlrev_b32_e32 v33, 3, v22
	s_delay_alu instid0(VALU_DEP_1) | instskip(NEXT) | instid1(VALU_DEP_1)
	v_add3_u32 v22, v22, v33, 0xfd7046c5
	v_lshrrev_b32_e32 v33, 16, v22
	s_delay_alu instid0(VALU_DEP_1) | instskip(NEXT) | instid1(VALU_DEP_1)
	v_xor3_b32 v22, v22, v33, 0xb55a4f09
	v_mul_hi_u32 v33, v22, 3
	s_delay_alu instid0(VALU_DEP_1) | instskip(NEXT) | instid1(VALU_DEP_1)
	v_sub_nc_u32_e32 v34, v22, v33
	v_lshrrev_b32_e32 v34, 1, v34
	s_delay_alu instid0(VALU_DEP_1) | instskip(NEXT) | instid1(VALU_DEP_1)
	v_add_nc_u32_e32 v33, v34, v33
	v_lshrrev_b32_e32 v33, 30, v33
	s_delay_alu instid0(VALU_DEP_1) | instskip(NEXT) | instid1(VALU_DEP_1)
	v_mul_lo_u32 v33, 0x7fffffff, v33
	v_sub_nc_u32_e32 v22, v22, v33
	s_delay_alu instid0(VALU_DEP_1)
	v_max_u32_e32 v33, 1, v22
	v_mov_b32_e32 v22, 0
.LBB27_202:                             ; =>This Inner Loop Header: Depth=1
	s_delay_alu instid0(VALU_DEP_2) | instskip(SKIP_1) | instid1(SALU_CYCLE_1)
	v_mul_hi_u32 v34, 0xbc8f1391, v33
	s_add_co_i32 s26, s26, -2
	s_cmp_lg_u32 s26, 0
	s_delay_alu instid0(VALU_DEP_1) | instskip(NEXT) | instid1(VALU_DEP_1)
	v_lshrrev_b32_e32 v34, 15, v34
	v_mul_u32_u24_e32 v35, 0xadc8, v34
	s_delay_alu instid0(VALU_DEP_1) | instskip(SKIP_1) | instid1(VALU_DEP_2)
	v_sub_nc_u32_e32 v33, v33, v35
	v_mul_u32_u24_e32 v34, 0xd47, v34
	v_mul_lo_u32 v33, 0xbc8f, v33
	s_delay_alu instid0(VALU_DEP_2) | instskip(SKIP_1) | instid1(VALU_DEP_3)
	v_xor_b32_e32 v35, 0x7fffffff, v34
	v_sub_nc_u32_e32 v36, 0, v34
	v_cmp_lt_u32_e32 vcc_lo, v33, v34
	s_delay_alu instid0(VALU_DEP_2) | instskip(NEXT) | instid1(VALU_DEP_1)
	v_cndmask_b32_e32 v34, v36, v35, vcc_lo
	v_add_nc_u32_e32 v33, v34, v33
	s_delay_alu instid0(VALU_DEP_1) | instskip(NEXT) | instid1(VALU_DEP_1)
	v_mul_hi_u32 v34, 0xbc8f1391, v33
	v_lshrrev_b32_e32 v34, 15, v34
	s_delay_alu instid0(VALU_DEP_1) | instskip(SKIP_1) | instid1(VALU_DEP_2)
	v_mul_u32_u24_e32 v35, 0xadc8, v34
	v_mul_u32_u24_e32 v34, 0xd47, v34
	v_sub_nc_u32_e32 v35, v33, v35
	s_delay_alu instid0(VALU_DEP_2) | instskip(SKIP_1) | instid1(VALU_DEP_3)
	v_xor_b32_e32 v36, 0x7fffffff, v34
	v_add_nc_u32_e32 v33, -1, v33
	v_mul_lo_u32 v35, 0xbc8f, v35
	v_sub_nc_u32_e32 v37, 0, v34
	s_delay_alu instid0(VALU_DEP_2) | instskip(NEXT) | instid1(VALU_DEP_2)
	v_cmp_lt_u32_e32 vcc_lo, v35, v34
	v_cndmask_b32_e32 v34, v37, v36, vcc_lo
	s_delay_alu instid0(VALU_DEP_1) | instskip(NEXT) | instid1(VALU_DEP_1)
	v_add_nc_u32_e32 v35, v34, v35
	v_mul_hi_u32 v34, 0xbc8f1391, v35
	s_delay_alu instid0(VALU_DEP_1) | instskip(NEXT) | instid1(VALU_DEP_1)
	v_lshrrev_b32_e32 v34, 15, v34
	v_mul_u32_u24_e32 v36, 0xadc8, v34
	v_mul_u32_u24_e32 v34, 0xd47, v34
	s_delay_alu instid0(VALU_DEP_2) | instskip(NEXT) | instid1(VALU_DEP_2)
	v_sub_nc_u32_e32 v36, v35, v36
	v_xor_b32_e32 v37, 0x7fffffff, v34
	s_delay_alu instid0(VALU_DEP_2) | instskip(SKIP_1) | instid1(VALU_DEP_2)
	v_mul_lo_u32 v36, 0xbc8f, v36
	v_sub_nc_u32_e32 v38, 0, v34
	v_cmp_lt_u32_e32 vcc_lo, v36, v34
	s_delay_alu instid0(VALU_DEP_2) | instskip(NEXT) | instid1(VALU_DEP_1)
	v_dual_cndmask_b32 v34, v38, v37, vcc_lo :: v_dual_add_f32 v38, 1.0, v22
	v_add_nc_u32_e32 v36, v34, v36
	s_delay_alu instid0(VALU_DEP_1) | instskip(NEXT) | instid1(VALU_DEP_1)
	v_mul_hi_u32 v34, 0xbc8f1391, v36
	v_lshrrev_b32_e32 v34, 15, v34
	s_delay_alu instid0(VALU_DEP_1) | instskip(SKIP_2) | instid1(VALU_DEP_3)
	v_mul_u32_u24_e32 v37, 0xadc8, v34
	v_mul_u32_u24_e32 v39, 0xd47, v34
	v_cvt_f32_u32_e32 v34, v33
	v_sub_nc_u32_e32 v37, v36, v37
	s_delay_alu instid0(VALU_DEP_3) | instskip(SKIP_1) | instid1(VALU_DEP_3)
	v_xor_b32_e32 v33, 0x7fffffff, v39
	v_dual_sub_nc_u32 v40, 0, v39 :: v_dual_add_nc_u32 v36, -1, v36
	v_mul_lo_u32 v37, 0xbc8f, v37
	s_delay_alu instid0(VALU_DEP_2) | instskip(NEXT) | instid1(VALU_DEP_2)
	v_cvt_f32_u32_e32 v36, v36
	v_cmp_lt_u32_e32 vcc_lo, v37, v39
	s_delay_alu instid0(VALU_DEP_4) | instskip(NEXT) | instid1(VALU_DEP_1)
	v_dual_add_nc_u32 v35, -1, v35 :: v_dual_cndmask_b32 v33, v40, v33, vcc_lo
	v_cvt_f32_u32_e32 v35, v35
	s_delay_alu instid0(VALU_DEP_2) | instskip(NEXT) | instid1(VALU_DEP_2)
	v_add_nc_u32_e32 v33, v33, v37
	v_pk_fma_f32 v[34:35], v[34:35], s[24:25], 0 op_sel_hi:[1,0,0]
	s_delay_alu instid0(VALU_DEP_1) | instskip(NEXT) | instid1(VALU_DEP_1)
	v_pk_mul_f32 v[34:35], v[34:35], v[34:35]
	v_dual_add_nc_u32 v37, -1, v33 :: v_dual_add_f32 v39, v34, v35
	s_delay_alu instid0(VALU_DEP_1) | instskip(NEXT) | instid1(VALU_DEP_2)
	v_cvt_f32_u32_e32 v37, v37
	v_cmp_gt_f32_e32 vcc_lo, 0xf800000, v39
	s_delay_alu instid0(VALU_DEP_2) | instskip(NEXT) | instid1(VALU_DEP_1)
	v_pk_fma_f32 v[34:35], v[36:37], s[24:25], 0 op_sel_hi:[1,0,0]
	v_pk_mul_f32 v[34:35], v[34:35], v[34:35]
	s_delay_alu instid0(VALU_DEP_1) | instskip(NEXT) | instid1(VALU_DEP_1)
	v_add_f32_e32 v34, v34, v35
	v_dual_mul_f32 v36, 0x4f800000, v39 :: v_dual_mul_f32 v37, 0x4f800000, v34
	s_delay_alu instid0(VALU_DEP_1) | instskip(SKIP_1) | instid1(VALU_DEP_2)
	v_cndmask_b32_e32 v36, v39, v36, vcc_lo
	v_cmp_gt_f32_e64 s22, 0xf800000, v34
	v_sqrt_f32_e32 v35, v36
	v_nop
	s_delay_alu instid0(TRANS32_DEP_1) | instskip(NEXT) | instid1(VALU_DEP_1)
	v_dual_add_nc_u32 v39, -1, v35 :: v_dual_cndmask_b32 v34, v34, v37, s22
	v_dual_add_nc_u32 v37, 1, v35 :: v_dual_fma_f32 v40, -v39, v35, v36
	s_delay_alu instid0(VALU_DEP_2) | instskip(NEXT) | instid1(VALU_DEP_1)
	v_sqrt_f32_e32 v41, v34
	v_fma_f32 v42, -v37, v35, v36
	s_delay_alu instid0(VALU_DEP_2)
	v_cmp_ge_f32_e64 s23, 0, v40
	s_delay_alu instid0(TRANS32_DEP_1) | instid1(VALU_DEP_1)
	v_dual_cndmask_b32 v35, v35, v39, s23 :: v_dual_add_nc_u32 v39, -1, v41
	s_delay_alu instid0(VALU_DEP_3) | instskip(NEXT) | instid1(VALU_DEP_1)
	v_cmp_lt_f32_e64 s23, 0, v42
	v_cndmask_b32_e64 v35, v35, v37, s23
	s_delay_alu instid0(VALU_DEP_3) | instskip(NEXT) | instid1(VALU_DEP_1)
	v_dual_add_nc_u32 v37, 1, v41 :: v_dual_fma_f32 v40, -v39, v41, v34
	v_fma_f32 v43, -v37, v41, v34
	s_delay_alu instid0(VALU_DEP_2) | instskip(NEXT) | instid1(VALU_DEP_1)
	v_cmp_ge_f32_e64 s23, 0, v40
	v_cndmask_b32_e64 v39, v41, v39, s23
	v_mul_f32_e32 v42, 0x37800000, v35
	s_delay_alu instid0(VALU_DEP_4) | instskip(NEXT) | instid1(VALU_DEP_1)
	v_cmp_lt_f32_e64 s23, 0, v43
	v_cndmask_b32_e64 v37, v39, v37, s23
	s_delay_alu instid0(VALU_DEP_3) | instskip(SKIP_1) | instid1(VALU_DEP_2)
	v_cndmask_b32_e32 v35, v35, v42, vcc_lo
	v_cmp_class_f32_e64 vcc_lo, v36, 0x260
	v_cndmask_b32_e32 v35, v35, v36, vcc_lo
	s_delay_alu instid0(VALU_DEP_1) | instskip(SKIP_3) | instid1(VALU_DEP_2)
	v_cmp_nge_f32_e32 vcc_lo, 1.0, v35
	v_cndmask_b32_e32 v22, v38, v22, vcc_lo
	v_mul_f32_e32 v36, 0x37800000, v37
	v_cmp_class_f32_e64 vcc_lo, v34, 0x260
	v_dual_cndmask_b32 v35, v37, v36, s22 :: v_dual_add_f32 v36, 1.0, v22
	s_delay_alu instid0(VALU_DEP_1) | instskip(NEXT) | instid1(VALU_DEP_1)
	v_cndmask_b32_e32 v34, v35, v34, vcc_lo
	v_cmp_nge_f32_e32 vcc_lo, 1.0, v34
	s_delay_alu instid0(VALU_DEP_3)
	v_cndmask_b32_e32 v22, v36, v22, vcc_lo
	s_cbranch_scc1 .LBB27_202
; %bb.203:
	s_delay_alu instid0(VALU_DEP_1) | instskip(NEXT) | instid1(VALU_DEP_1)
	v_mul_f32_e32 v22, 4.0, v22
	v_div_scale_f32 v33, null, 0x461c4000, 0x461c4000, v22
	s_delay_alu instid0(VALU_DEP_1) | instskip(SKIP_1) | instid1(TRANS32_DEP_1)
	v_rcp_f32_e32 v34, v33
	v_nop
	v_fma_f32 v35, -v33, v34, 1.0
	s_delay_alu instid0(VALU_DEP_1) | instskip(SKIP_1) | instid1(VALU_DEP_1)
	v_fmac_f32_e32 v34, v35, v34
	v_div_scale_f32 v35, vcc_lo, v22, 0x461c4000, v22
	v_mul_f32_e32 v36, v35, v34
	s_delay_alu instid0(VALU_DEP_1) | instskip(NEXT) | instid1(VALU_DEP_1)
	v_fma_f32 v37, -v33, v36, v35
	v_fmac_f32_e32 v36, v37, v34
	s_delay_alu instid0(VALU_DEP_1) | instskip(NEXT) | instid1(VALU_DEP_1)
	v_fma_f32 v33, -v33, v36, v35
	v_div_fmas_f32 v33, v33, v34, v36
	s_delay_alu instid0(VALU_DEP_1)
	v_div_fixup_f32 v22, v33, 0x461c4000, v22
.LBB27_204:
	s_or_b32 exec_lo, exec_lo, s25
	v_or_b32_e32 v33, 0x1500, v0
	s_delay_alu instid0(VALU_DEP_1)
	v_cmp_gt_u32_e64 s22, s46, v33
	s_and_saveexec_b32 s25, s22
	s_cbranch_execz .LBB27_208
; %bb.205:
	v_add_nc_u32_e32 v21, s35, v33
	s_movk_i32 s27, 0x2710
	s_brev_b32 s26, 12
	s_delay_alu instid0(VALU_DEP_1) | instskip(NEXT) | instid1(VALU_DEP_1)
	v_lshlrev_b32_e32 v33, 12, v21
	v_add3_u32 v21, v21, v33, 0x7ed55d16
	s_delay_alu instid0(VALU_DEP_1) | instskip(NEXT) | instid1(VALU_DEP_1)
	v_lshrrev_b32_e32 v33, 19, v21
	v_xor3_b32 v21, v21, v33, 0xc761c23c
	s_delay_alu instid0(VALU_DEP_1) | instskip(NEXT) | instid1(VALU_DEP_1)
	v_lshl_add_u32 v21, v21, 5, v21
	v_add_nc_u32_e32 v33, 0xe9f8cc1d, v21
	v_lshl_add_u32 v21, v21, 9, 0xaccf6200
	s_delay_alu instid0(VALU_DEP_1) | instskip(NEXT) | instid1(VALU_DEP_1)
	v_xor_b32_e32 v21, v33, v21
	v_lshlrev_b32_e32 v33, 3, v21
	s_delay_alu instid0(VALU_DEP_1) | instskip(NEXT) | instid1(VALU_DEP_1)
	v_add3_u32 v21, v21, v33, 0xfd7046c5
	v_lshrrev_b32_e32 v33, 16, v21
	s_delay_alu instid0(VALU_DEP_1) | instskip(NEXT) | instid1(VALU_DEP_1)
	v_xor3_b32 v21, v21, v33, 0xb55a4f09
	v_mul_hi_u32 v33, v21, 3
	s_delay_alu instid0(VALU_DEP_1) | instskip(NEXT) | instid1(VALU_DEP_1)
	v_sub_nc_u32_e32 v34, v21, v33
	v_lshrrev_b32_e32 v34, 1, v34
	s_delay_alu instid0(VALU_DEP_1) | instskip(NEXT) | instid1(VALU_DEP_1)
	v_add_nc_u32_e32 v33, v34, v33
	v_lshrrev_b32_e32 v33, 30, v33
	s_delay_alu instid0(VALU_DEP_1) | instskip(NEXT) | instid1(VALU_DEP_1)
	v_mul_lo_u32 v33, 0x7fffffff, v33
	v_sub_nc_u32_e32 v21, v21, v33
	s_delay_alu instid0(VALU_DEP_1)
	v_max_u32_e32 v33, 1, v21
	v_mov_b32_e32 v21, 0
.LBB27_206:                             ; =>This Inner Loop Header: Depth=1
	s_delay_alu instid0(VALU_DEP_2) | instskip(NEXT) | instid1(VALU_DEP_1)
	v_mul_hi_u32 v34, 0xbc8f1391, v33
	v_lshrrev_b32_e32 v34, 15, v34
	s_delay_alu instid0(VALU_DEP_1) | instskip(NEXT) | instid1(VALU_DEP_1)
	v_mul_u32_u24_e32 v35, 0xadc8, v34
	v_sub_nc_u32_e32 v33, v33, v35
	v_mul_u32_u24_e32 v34, 0xd47, v34
	s_delay_alu instid0(VALU_DEP_2) | instskip(NEXT) | instid1(VALU_DEP_2)
	v_mul_lo_u32 v33, 0xbc8f, v33
	v_xor_b32_e32 v35, 0x7fffffff, v34
	v_sub_nc_u32_e32 v36, 0, v34
	s_delay_alu instid0(VALU_DEP_3) | instskip(NEXT) | instid1(VALU_DEP_2)
	v_cmp_lt_u32_e32 vcc_lo, v33, v34
	v_cndmask_b32_e32 v34, v36, v35, vcc_lo
	s_delay_alu instid0(VALU_DEP_1) | instskip(NEXT) | instid1(VALU_DEP_1)
	v_add_nc_u32_e32 v33, v34, v33
	v_mul_hi_u32 v34, 0xbc8f1391, v33
	s_delay_alu instid0(VALU_DEP_1) | instskip(NEXT) | instid1(VALU_DEP_1)
	v_lshrrev_b32_e32 v34, 15, v34
	v_mul_u32_u24_e32 v35, 0xadc8, v34
	v_mul_u32_u24_e32 v34, 0xd47, v34
	s_delay_alu instid0(VALU_DEP_2) | instskip(NEXT) | instid1(VALU_DEP_2)
	v_sub_nc_u32_e32 v35, v33, v35
	v_xor_b32_e32 v36, 0x7fffffff, v34
	v_add_nc_u32_e32 v33, -1, v33
	s_delay_alu instid0(VALU_DEP_3) | instskip(SKIP_1) | instid1(VALU_DEP_2)
	v_mul_lo_u32 v35, 0xbc8f, v35
	v_sub_nc_u32_e32 v37, 0, v34
	v_cmp_lt_u32_e32 vcc_lo, v35, v34
	s_delay_alu instid0(VALU_DEP_2) | instskip(NEXT) | instid1(VALU_DEP_1)
	v_cndmask_b32_e32 v34, v37, v36, vcc_lo
	v_add_nc_u32_e32 v35, v34, v35
	s_delay_alu instid0(VALU_DEP_1) | instskip(NEXT) | instid1(VALU_DEP_1)
	v_mul_hi_u32 v34, 0xbc8f1391, v35
	v_lshrrev_b32_e32 v34, 15, v34
	s_delay_alu instid0(VALU_DEP_1) | instskip(SKIP_1) | instid1(VALU_DEP_2)
	v_mul_u32_u24_e32 v36, 0xadc8, v34
	v_mul_u32_u24_e32 v34, 0xd47, v34
	v_sub_nc_u32_e32 v36, v35, v36
	s_delay_alu instid0(VALU_DEP_2) | instskip(NEXT) | instid1(VALU_DEP_2)
	v_xor_b32_e32 v37, 0x7fffffff, v34
	v_mul_lo_u32 v36, 0xbc8f, v36
	v_sub_nc_u32_e32 v38, 0, v34
	s_delay_alu instid0(VALU_DEP_2) | instskip(NEXT) | instid1(VALU_DEP_2)
	v_cmp_lt_u32_e32 vcc_lo, v36, v34
	v_cndmask_b32_e32 v34, v38, v37, vcc_lo
	s_delay_alu instid0(VALU_DEP_1) | instskip(NEXT) | instid1(VALU_DEP_1)
	v_dual_add_f32 v38, 1.0, v21 :: v_dual_add_nc_u32 v36, v34, v36
	v_mul_hi_u32 v34, 0xbc8f1391, v36
	s_delay_alu instid0(VALU_DEP_1) | instskip(NEXT) | instid1(VALU_DEP_1)
	v_lshrrev_b32_e32 v34, 15, v34
	v_mul_u32_u24_e32 v37, 0xadc8, v34
	v_mul_u32_u24_e32 v39, 0xd47, v34
	v_cvt_f32_u32_e32 v34, v33
	s_delay_alu instid0(VALU_DEP_3) | instskip(NEXT) | instid1(VALU_DEP_3)
	v_sub_nc_u32_e32 v37, v36, v37
	v_xor_b32_e32 v33, 0x7fffffff, v39
	v_dual_sub_nc_u32 v40, 0, v39 :: v_dual_add_nc_u32 v36, -1, v36
	s_delay_alu instid0(VALU_DEP_3) | instskip(NEXT) | instid1(VALU_DEP_2)
	v_mul_lo_u32 v37, 0xbc8f, v37
	v_cvt_f32_u32_e32 v36, v36
	s_delay_alu instid0(VALU_DEP_2) | instskip(NEXT) | instid1(VALU_DEP_4)
	v_cmp_lt_u32_e32 vcc_lo, v37, v39
	v_dual_add_nc_u32 v35, -1, v35 :: v_dual_cndmask_b32 v33, v40, v33, vcc_lo
	s_delay_alu instid0(VALU_DEP_1) | instskip(NEXT) | instid1(VALU_DEP_2)
	v_cvt_f32_u32_e32 v35, v35
	v_add_nc_u32_e32 v33, v33, v37
	s_delay_alu instid0(VALU_DEP_2) | instskip(NEXT) | instid1(VALU_DEP_1)
	v_pk_fma_f32 v[34:35], v[34:35], s[26:27], 0 op_sel_hi:[1,0,0]
	v_pk_mul_f32 v[34:35], v[34:35], v[34:35]
	s_delay_alu instid0(VALU_DEP_1) | instskip(NEXT) | instid1(VALU_DEP_1)
	v_dual_add_nc_u32 v37, -1, v33 :: v_dual_add_f32 v39, v34, v35
	v_cvt_f32_u32_e32 v37, v37
	s_delay_alu instid0(VALU_DEP_2) | instskip(NEXT) | instid1(VALU_DEP_2)
	v_cmp_gt_f32_e32 vcc_lo, 0xf800000, v39
	v_pk_fma_f32 v[34:35], v[36:37], s[26:27], 0 op_sel_hi:[1,0,0]
	s_add_co_i32 s27, s27, -2
	s_delay_alu instid0(SALU_CYCLE_1) | instskip(NEXT) | instid1(VALU_DEP_1)
	s_cmp_lg_u32 s27, 0
	v_pk_mul_f32 v[34:35], v[34:35], v[34:35]
	s_delay_alu instid0(VALU_DEP_1) | instskip(NEXT) | instid1(VALU_DEP_1)
	v_add_f32_e32 v34, v34, v35
	v_dual_mul_f32 v36, 0x4f800000, v39 :: v_dual_mul_f32 v37, 0x4f800000, v34
	s_delay_alu instid0(VALU_DEP_1) | instskip(SKIP_1) | instid1(VALU_DEP_2)
	v_cndmask_b32_e32 v36, v39, v36, vcc_lo
	v_cmp_gt_f32_e64 s23, 0xf800000, v34
	v_sqrt_f32_e32 v35, v36
	v_nop
	s_delay_alu instid0(TRANS32_DEP_1) | instskip(NEXT) | instid1(VALU_DEP_1)
	v_dual_add_nc_u32 v39, -1, v35 :: v_dual_cndmask_b32 v34, v34, v37, s23
	v_dual_add_nc_u32 v37, 1, v35 :: v_dual_fma_f32 v40, -v39, v35, v36
	s_delay_alu instid0(VALU_DEP_2) | instskip(NEXT) | instid1(VALU_DEP_1)
	v_sqrt_f32_e32 v41, v34
	v_fma_f32 v42, -v37, v35, v36
	s_delay_alu instid0(VALU_DEP_2)
	v_cmp_ge_f32_e64 s24, 0, v40
	s_delay_alu instid0(TRANS32_DEP_1) | instid1(VALU_DEP_1)
	v_dual_cndmask_b32 v35, v35, v39, s24 :: v_dual_add_nc_u32 v39, -1, v41
	s_delay_alu instid0(VALU_DEP_3) | instskip(NEXT) | instid1(VALU_DEP_1)
	v_cmp_lt_f32_e64 s24, 0, v42
	v_cndmask_b32_e64 v35, v35, v37, s24
	s_delay_alu instid0(VALU_DEP_3) | instskip(NEXT) | instid1(VALU_DEP_1)
	v_dual_add_nc_u32 v37, 1, v41 :: v_dual_fma_f32 v40, -v39, v41, v34
	v_fma_f32 v43, -v37, v41, v34
	s_delay_alu instid0(VALU_DEP_2) | instskip(NEXT) | instid1(VALU_DEP_1)
	v_cmp_ge_f32_e64 s24, 0, v40
	v_cndmask_b32_e64 v39, v41, v39, s24
	v_mul_f32_e32 v42, 0x37800000, v35
	s_delay_alu instid0(VALU_DEP_4) | instskip(NEXT) | instid1(VALU_DEP_1)
	v_cmp_lt_f32_e64 s24, 0, v43
	v_cndmask_b32_e64 v37, v39, v37, s24
	s_delay_alu instid0(VALU_DEP_3) | instskip(SKIP_1) | instid1(VALU_DEP_2)
	v_cndmask_b32_e32 v35, v35, v42, vcc_lo
	v_cmp_class_f32_e64 vcc_lo, v36, 0x260
	v_dual_cndmask_b32 v35, v35, v36 :: v_dual_mul_f32 v36, 0x37800000, v37
	s_delay_alu instid0(VALU_DEP_1) | instskip(NEXT) | instid1(VALU_DEP_2)
	v_cmp_nge_f32_e32 vcc_lo, 1.0, v35
	v_dual_cndmask_b32 v35, v37, v36, s23 :: v_dual_cndmask_b32 v21, v38, v21, vcc_lo
	v_cmp_class_f32_e64 vcc_lo, v34, 0x260
	s_delay_alu instid0(VALU_DEP_1) | instskip(NEXT) | instid1(VALU_DEP_1)
	v_dual_add_f32 v36, 1.0, v21 :: v_dual_cndmask_b32 v34, v35, v34, vcc_lo
	v_cmp_nge_f32_e32 vcc_lo, 1.0, v34
	s_delay_alu instid0(VALU_DEP_2)
	v_cndmask_b32_e32 v21, v36, v21, vcc_lo
	s_cbranch_scc1 .LBB27_206
; %bb.207:
	s_delay_alu instid0(VALU_DEP_1) | instskip(NEXT) | instid1(VALU_DEP_1)
	v_mul_f32_e32 v21, 4.0, v21
	v_div_scale_f32 v33, null, 0x461c4000, 0x461c4000, v21
	s_delay_alu instid0(VALU_DEP_1) | instskip(SKIP_1) | instid1(TRANS32_DEP_1)
	v_rcp_f32_e32 v34, v33
	v_nop
	v_fma_f32 v35, -v33, v34, 1.0
	s_delay_alu instid0(VALU_DEP_1) | instskip(SKIP_1) | instid1(VALU_DEP_1)
	v_fmac_f32_e32 v34, v35, v34
	v_div_scale_f32 v35, vcc_lo, v21, 0x461c4000, v21
	v_mul_f32_e32 v36, v35, v34
	s_delay_alu instid0(VALU_DEP_1) | instskip(NEXT) | instid1(VALU_DEP_1)
	v_fma_f32 v37, -v33, v36, v35
	v_fmac_f32_e32 v36, v37, v34
	s_delay_alu instid0(VALU_DEP_1) | instskip(NEXT) | instid1(VALU_DEP_1)
	v_fma_f32 v33, -v33, v36, v35
	v_div_fmas_f32 v33, v33, v34, v36
	s_delay_alu instid0(VALU_DEP_1)
	v_div_fixup_f32 v21, v33, 0x461c4000, v21
.LBB27_208:
	s_or_b32 exec_lo, exec_lo, s25
	v_or_b32_e32 v33, 0x1600, v0
	s_delay_alu instid0(VALU_DEP_1)
	v_cmp_gt_u32_e64 s23, s46, v33
	s_and_saveexec_b32 s27, s23
	s_cbranch_execz .LBB27_212
; %bb.209:
	v_add_nc_u32_e32 v24, s35, v33
	s_movk_i32 s28, 0x2710
	s_brev_b32 s26, 12
	s_delay_alu instid0(VALU_DEP_1) | instskip(NEXT) | instid1(VALU_DEP_1)
	v_lshlrev_b32_e32 v33, 12, v24
	v_add3_u32 v24, v24, v33, 0x7ed55d16
	s_delay_alu instid0(VALU_DEP_1) | instskip(NEXT) | instid1(VALU_DEP_1)
	v_lshrrev_b32_e32 v33, 19, v24
	v_xor3_b32 v24, v24, v33, 0xc761c23c
	s_delay_alu instid0(VALU_DEP_1) | instskip(NEXT) | instid1(VALU_DEP_1)
	v_lshl_add_u32 v24, v24, 5, v24
	v_add_nc_u32_e32 v33, 0xe9f8cc1d, v24
	v_lshl_add_u32 v24, v24, 9, 0xaccf6200
	s_delay_alu instid0(VALU_DEP_1) | instskip(NEXT) | instid1(VALU_DEP_1)
	v_xor_b32_e32 v24, v33, v24
	v_lshlrev_b32_e32 v33, 3, v24
	s_delay_alu instid0(VALU_DEP_1) | instskip(NEXT) | instid1(VALU_DEP_1)
	v_add3_u32 v24, v24, v33, 0xfd7046c5
	v_lshrrev_b32_e32 v33, 16, v24
	s_delay_alu instid0(VALU_DEP_1) | instskip(NEXT) | instid1(VALU_DEP_1)
	v_xor3_b32 v24, v24, v33, 0xb55a4f09
	v_mul_hi_u32 v33, v24, 3
	s_delay_alu instid0(VALU_DEP_1) | instskip(NEXT) | instid1(VALU_DEP_1)
	v_sub_nc_u32_e32 v34, v24, v33
	v_lshrrev_b32_e32 v34, 1, v34
	s_delay_alu instid0(VALU_DEP_1) | instskip(NEXT) | instid1(VALU_DEP_1)
	v_add_nc_u32_e32 v33, v34, v33
	v_lshrrev_b32_e32 v33, 30, v33
	s_delay_alu instid0(VALU_DEP_1) | instskip(NEXT) | instid1(VALU_DEP_1)
	v_mul_lo_u32 v33, 0x7fffffff, v33
	v_sub_nc_u32_e32 v24, v24, v33
	s_delay_alu instid0(VALU_DEP_1)
	v_max_u32_e32 v33, 1, v24
	v_mov_b32_e32 v24, 0
.LBB27_210:                             ; =>This Inner Loop Header: Depth=1
	s_delay_alu instid0(VALU_DEP_2) | instskip(SKIP_1) | instid1(SALU_CYCLE_1)
	v_mul_hi_u32 v34, 0xbc8f1391, v33
	s_add_co_i32 s28, s28, -2
	s_cmp_lg_u32 s28, 0
	s_delay_alu instid0(VALU_DEP_1) | instskip(NEXT) | instid1(VALU_DEP_1)
	v_lshrrev_b32_e32 v34, 15, v34
	v_mul_u32_u24_e32 v35, 0xadc8, v34
	s_delay_alu instid0(VALU_DEP_1) | instskip(SKIP_1) | instid1(VALU_DEP_2)
	v_sub_nc_u32_e32 v33, v33, v35
	v_mul_u32_u24_e32 v34, 0xd47, v34
	v_mul_lo_u32 v33, 0xbc8f, v33
	s_delay_alu instid0(VALU_DEP_2) | instskip(SKIP_1) | instid1(VALU_DEP_3)
	v_xor_b32_e32 v35, 0x7fffffff, v34
	v_sub_nc_u32_e32 v36, 0, v34
	v_cmp_lt_u32_e32 vcc_lo, v33, v34
	s_delay_alu instid0(VALU_DEP_2) | instskip(NEXT) | instid1(VALU_DEP_1)
	v_cndmask_b32_e32 v34, v36, v35, vcc_lo
	v_add_nc_u32_e32 v33, v34, v33
	s_delay_alu instid0(VALU_DEP_1) | instskip(NEXT) | instid1(VALU_DEP_1)
	v_mul_hi_u32 v34, 0xbc8f1391, v33
	v_lshrrev_b32_e32 v34, 15, v34
	s_delay_alu instid0(VALU_DEP_1) | instskip(SKIP_1) | instid1(VALU_DEP_2)
	v_mul_u32_u24_e32 v35, 0xadc8, v34
	v_mul_u32_u24_e32 v34, 0xd47, v34
	v_sub_nc_u32_e32 v35, v33, v35
	s_delay_alu instid0(VALU_DEP_2) | instskip(SKIP_1) | instid1(VALU_DEP_3)
	v_xor_b32_e32 v36, 0x7fffffff, v34
	v_add_nc_u32_e32 v33, -1, v33
	v_mul_lo_u32 v35, 0xbc8f, v35
	v_sub_nc_u32_e32 v37, 0, v34
	s_delay_alu instid0(VALU_DEP_2) | instskip(NEXT) | instid1(VALU_DEP_2)
	v_cmp_lt_u32_e32 vcc_lo, v35, v34
	v_cndmask_b32_e32 v34, v37, v36, vcc_lo
	s_delay_alu instid0(VALU_DEP_1) | instskip(NEXT) | instid1(VALU_DEP_1)
	v_add_nc_u32_e32 v35, v34, v35
	v_mul_hi_u32 v34, 0xbc8f1391, v35
	s_delay_alu instid0(VALU_DEP_1) | instskip(NEXT) | instid1(VALU_DEP_1)
	v_lshrrev_b32_e32 v34, 15, v34
	v_mul_u32_u24_e32 v36, 0xadc8, v34
	v_mul_u32_u24_e32 v34, 0xd47, v34
	s_delay_alu instid0(VALU_DEP_2) | instskip(NEXT) | instid1(VALU_DEP_2)
	v_sub_nc_u32_e32 v36, v35, v36
	v_xor_b32_e32 v37, 0x7fffffff, v34
	s_delay_alu instid0(VALU_DEP_2) | instskip(SKIP_1) | instid1(VALU_DEP_2)
	v_mul_lo_u32 v36, 0xbc8f, v36
	v_sub_nc_u32_e32 v38, 0, v34
	v_cmp_lt_u32_e32 vcc_lo, v36, v34
	s_delay_alu instid0(VALU_DEP_2) | instskip(NEXT) | instid1(VALU_DEP_1)
	v_dual_cndmask_b32 v34, v38, v37, vcc_lo :: v_dual_add_f32 v38, 1.0, v24
	v_add_nc_u32_e32 v36, v34, v36
	s_delay_alu instid0(VALU_DEP_1) | instskip(NEXT) | instid1(VALU_DEP_1)
	v_mul_hi_u32 v34, 0xbc8f1391, v36
	v_lshrrev_b32_e32 v34, 15, v34
	s_delay_alu instid0(VALU_DEP_1) | instskip(SKIP_2) | instid1(VALU_DEP_3)
	v_mul_u32_u24_e32 v37, 0xadc8, v34
	v_mul_u32_u24_e32 v39, 0xd47, v34
	v_cvt_f32_u32_e32 v34, v33
	v_sub_nc_u32_e32 v37, v36, v37
	s_delay_alu instid0(VALU_DEP_3) | instskip(SKIP_1) | instid1(VALU_DEP_3)
	v_xor_b32_e32 v33, 0x7fffffff, v39
	v_dual_sub_nc_u32 v40, 0, v39 :: v_dual_add_nc_u32 v36, -1, v36
	v_mul_lo_u32 v37, 0xbc8f, v37
	s_delay_alu instid0(VALU_DEP_2) | instskip(NEXT) | instid1(VALU_DEP_2)
	v_cvt_f32_u32_e32 v36, v36
	v_cmp_lt_u32_e32 vcc_lo, v37, v39
	s_delay_alu instid0(VALU_DEP_4) | instskip(NEXT) | instid1(VALU_DEP_1)
	v_dual_add_nc_u32 v35, -1, v35 :: v_dual_cndmask_b32 v33, v40, v33, vcc_lo
	v_cvt_f32_u32_e32 v35, v35
	s_delay_alu instid0(VALU_DEP_2) | instskip(NEXT) | instid1(VALU_DEP_2)
	v_add_nc_u32_e32 v33, v33, v37
	v_pk_fma_f32 v[34:35], v[34:35], s[26:27], 0 op_sel_hi:[1,0,0]
	s_delay_alu instid0(VALU_DEP_1) | instskip(NEXT) | instid1(VALU_DEP_1)
	v_pk_mul_f32 v[34:35], v[34:35], v[34:35]
	v_dual_add_nc_u32 v37, -1, v33 :: v_dual_add_f32 v39, v34, v35
	s_delay_alu instid0(VALU_DEP_1) | instskip(NEXT) | instid1(VALU_DEP_2)
	v_cvt_f32_u32_e32 v37, v37
	v_cmp_gt_f32_e32 vcc_lo, 0xf800000, v39
	s_delay_alu instid0(VALU_DEP_2) | instskip(NEXT) | instid1(VALU_DEP_1)
	v_pk_fma_f32 v[34:35], v[36:37], s[26:27], 0 op_sel_hi:[1,0,0]
	v_pk_mul_f32 v[34:35], v[34:35], v[34:35]
	s_delay_alu instid0(VALU_DEP_1) | instskip(NEXT) | instid1(VALU_DEP_1)
	v_add_f32_e32 v34, v34, v35
	v_dual_mul_f32 v36, 0x4f800000, v39 :: v_dual_mul_f32 v37, 0x4f800000, v34
	s_delay_alu instid0(VALU_DEP_1) | instskip(SKIP_1) | instid1(VALU_DEP_2)
	v_cndmask_b32_e32 v36, v39, v36, vcc_lo
	v_cmp_gt_f32_e64 s24, 0xf800000, v34
	v_sqrt_f32_e32 v35, v36
	v_nop
	s_delay_alu instid0(TRANS32_DEP_1) | instskip(NEXT) | instid1(VALU_DEP_1)
	v_dual_add_nc_u32 v39, -1, v35 :: v_dual_cndmask_b32 v34, v34, v37, s24
	v_dual_add_nc_u32 v37, 1, v35 :: v_dual_fma_f32 v40, -v39, v35, v36
	s_delay_alu instid0(VALU_DEP_2) | instskip(NEXT) | instid1(VALU_DEP_1)
	v_sqrt_f32_e32 v41, v34
	v_fma_f32 v42, -v37, v35, v36
	s_delay_alu instid0(VALU_DEP_2)
	v_cmp_ge_f32_e64 s25, 0, v40
	s_delay_alu instid0(TRANS32_DEP_1) | instid1(VALU_DEP_1)
	v_dual_cndmask_b32 v35, v35, v39, s25 :: v_dual_add_nc_u32 v39, -1, v41
	s_delay_alu instid0(VALU_DEP_3) | instskip(NEXT) | instid1(VALU_DEP_1)
	v_cmp_lt_f32_e64 s25, 0, v42
	v_cndmask_b32_e64 v35, v35, v37, s25
	s_delay_alu instid0(VALU_DEP_3) | instskip(NEXT) | instid1(VALU_DEP_1)
	v_dual_add_nc_u32 v37, 1, v41 :: v_dual_fma_f32 v40, -v39, v41, v34
	v_fma_f32 v43, -v37, v41, v34
	s_delay_alu instid0(VALU_DEP_2) | instskip(NEXT) | instid1(VALU_DEP_1)
	v_cmp_ge_f32_e64 s25, 0, v40
	v_cndmask_b32_e64 v39, v41, v39, s25
	v_mul_f32_e32 v42, 0x37800000, v35
	s_delay_alu instid0(VALU_DEP_4) | instskip(NEXT) | instid1(VALU_DEP_1)
	v_cmp_lt_f32_e64 s25, 0, v43
	v_cndmask_b32_e64 v37, v39, v37, s25
	s_delay_alu instid0(VALU_DEP_3) | instskip(SKIP_1) | instid1(VALU_DEP_2)
	v_cndmask_b32_e32 v35, v35, v42, vcc_lo
	v_cmp_class_f32_e64 vcc_lo, v36, 0x260
	v_cndmask_b32_e32 v35, v35, v36, vcc_lo
	s_delay_alu instid0(VALU_DEP_1) | instskip(SKIP_3) | instid1(VALU_DEP_2)
	v_cmp_nge_f32_e32 vcc_lo, 1.0, v35
	v_cndmask_b32_e32 v24, v38, v24, vcc_lo
	v_mul_f32_e32 v36, 0x37800000, v37
	v_cmp_class_f32_e64 vcc_lo, v34, 0x260
	v_cndmask_b32_e64 v35, v37, v36, s24
	s_delay_alu instid0(VALU_DEP_1) | instskip(NEXT) | instid1(VALU_DEP_1)
	v_dual_add_f32 v36, 1.0, v24 :: v_dual_cndmask_b32 v34, v35, v34, vcc_lo
	v_cmp_nge_f32_e32 vcc_lo, 1.0, v34
	s_delay_alu instid0(VALU_DEP_2)
	v_cndmask_b32_e32 v24, v36, v24, vcc_lo
	s_cbranch_scc1 .LBB27_210
; %bb.211:
	s_delay_alu instid0(VALU_DEP_1) | instskip(NEXT) | instid1(VALU_DEP_1)
	v_mul_f32_e32 v24, 4.0, v24
	v_div_scale_f32 v33, null, 0x461c4000, 0x461c4000, v24
	s_delay_alu instid0(VALU_DEP_1) | instskip(SKIP_1) | instid1(TRANS32_DEP_1)
	v_rcp_f32_e32 v34, v33
	v_nop
	v_fma_f32 v35, -v33, v34, 1.0
	s_delay_alu instid0(VALU_DEP_1) | instskip(SKIP_1) | instid1(VALU_DEP_1)
	v_fmac_f32_e32 v34, v35, v34
	v_div_scale_f32 v35, vcc_lo, v24, 0x461c4000, v24
	v_mul_f32_e32 v36, v35, v34
	s_delay_alu instid0(VALU_DEP_1) | instskip(NEXT) | instid1(VALU_DEP_1)
	v_fma_f32 v37, -v33, v36, v35
	v_fmac_f32_e32 v36, v37, v34
	s_delay_alu instid0(VALU_DEP_1) | instskip(NEXT) | instid1(VALU_DEP_1)
	v_fma_f32 v33, -v33, v36, v35
	v_div_fmas_f32 v33, v33, v34, v36
	s_delay_alu instid0(VALU_DEP_1)
	v_div_fixup_f32 v24, v33, 0x461c4000, v24
.LBB27_212:
	s_or_b32 exec_lo, exec_lo, s27
	v_or_b32_e32 v33, 0x1700, v0
	s_delay_alu instid0(VALU_DEP_1)
	v_cmp_gt_u32_e64 s24, s46, v33
	s_and_saveexec_b32 s27, s24
	s_cbranch_execz .LBB27_216
; %bb.213:
	v_add_nc_u32_e32 v23, s35, v33
	s_movk_i32 s29, 0x2710
	s_brev_b32 s28, 12
	s_delay_alu instid0(VALU_DEP_1) | instskip(NEXT) | instid1(VALU_DEP_1)
	v_lshlrev_b32_e32 v33, 12, v23
	v_add3_u32 v23, v23, v33, 0x7ed55d16
	s_delay_alu instid0(VALU_DEP_1) | instskip(NEXT) | instid1(VALU_DEP_1)
	v_lshrrev_b32_e32 v33, 19, v23
	v_xor3_b32 v23, v23, v33, 0xc761c23c
	s_delay_alu instid0(VALU_DEP_1) | instskip(NEXT) | instid1(VALU_DEP_1)
	v_lshl_add_u32 v23, v23, 5, v23
	v_add_nc_u32_e32 v33, 0xe9f8cc1d, v23
	v_lshl_add_u32 v23, v23, 9, 0xaccf6200
	s_delay_alu instid0(VALU_DEP_1) | instskip(NEXT) | instid1(VALU_DEP_1)
	v_xor_b32_e32 v23, v33, v23
	v_lshlrev_b32_e32 v33, 3, v23
	s_delay_alu instid0(VALU_DEP_1) | instskip(NEXT) | instid1(VALU_DEP_1)
	v_add3_u32 v23, v23, v33, 0xfd7046c5
	v_lshrrev_b32_e32 v33, 16, v23
	s_delay_alu instid0(VALU_DEP_1) | instskip(NEXT) | instid1(VALU_DEP_1)
	v_xor3_b32 v23, v23, v33, 0xb55a4f09
	v_mul_hi_u32 v33, v23, 3
	s_delay_alu instid0(VALU_DEP_1) | instskip(NEXT) | instid1(VALU_DEP_1)
	v_sub_nc_u32_e32 v34, v23, v33
	v_lshrrev_b32_e32 v34, 1, v34
	s_delay_alu instid0(VALU_DEP_1) | instskip(NEXT) | instid1(VALU_DEP_1)
	v_add_nc_u32_e32 v33, v34, v33
	v_lshrrev_b32_e32 v33, 30, v33
	s_delay_alu instid0(VALU_DEP_1) | instskip(NEXT) | instid1(VALU_DEP_1)
	v_mul_lo_u32 v33, 0x7fffffff, v33
	v_sub_nc_u32_e32 v23, v23, v33
	s_delay_alu instid0(VALU_DEP_1)
	v_max_u32_e32 v33, 1, v23
	v_mov_b32_e32 v23, 0
.LBB27_214:                             ; =>This Inner Loop Header: Depth=1
	s_delay_alu instid0(VALU_DEP_2) | instskip(NEXT) | instid1(VALU_DEP_1)
	v_mul_hi_u32 v34, 0xbc8f1391, v33
	v_lshrrev_b32_e32 v34, 15, v34
	s_delay_alu instid0(VALU_DEP_1) | instskip(NEXT) | instid1(VALU_DEP_1)
	v_mul_u32_u24_e32 v35, 0xadc8, v34
	v_sub_nc_u32_e32 v33, v33, v35
	v_mul_u32_u24_e32 v34, 0xd47, v34
	s_delay_alu instid0(VALU_DEP_2) | instskip(NEXT) | instid1(VALU_DEP_2)
	v_mul_lo_u32 v33, 0xbc8f, v33
	v_xor_b32_e32 v35, 0x7fffffff, v34
	v_sub_nc_u32_e32 v36, 0, v34
	s_delay_alu instid0(VALU_DEP_3) | instskip(NEXT) | instid1(VALU_DEP_2)
	v_cmp_lt_u32_e32 vcc_lo, v33, v34
	v_cndmask_b32_e32 v34, v36, v35, vcc_lo
	s_delay_alu instid0(VALU_DEP_1) | instskip(NEXT) | instid1(VALU_DEP_1)
	v_add_nc_u32_e32 v33, v34, v33
	v_mul_hi_u32 v34, 0xbc8f1391, v33
	s_delay_alu instid0(VALU_DEP_1) | instskip(NEXT) | instid1(VALU_DEP_1)
	v_lshrrev_b32_e32 v34, 15, v34
	v_mul_u32_u24_e32 v35, 0xadc8, v34
	v_mul_u32_u24_e32 v34, 0xd47, v34
	s_delay_alu instid0(VALU_DEP_2) | instskip(NEXT) | instid1(VALU_DEP_2)
	v_sub_nc_u32_e32 v35, v33, v35
	v_xor_b32_e32 v36, 0x7fffffff, v34
	v_add_nc_u32_e32 v33, -1, v33
	s_delay_alu instid0(VALU_DEP_3) | instskip(SKIP_1) | instid1(VALU_DEP_2)
	v_mul_lo_u32 v35, 0xbc8f, v35
	v_sub_nc_u32_e32 v37, 0, v34
	v_cmp_lt_u32_e32 vcc_lo, v35, v34
	s_delay_alu instid0(VALU_DEP_2) | instskip(NEXT) | instid1(VALU_DEP_1)
	v_cndmask_b32_e32 v34, v37, v36, vcc_lo
	v_add_nc_u32_e32 v35, v34, v35
	s_delay_alu instid0(VALU_DEP_1) | instskip(NEXT) | instid1(VALU_DEP_1)
	v_mul_hi_u32 v34, 0xbc8f1391, v35
	v_lshrrev_b32_e32 v34, 15, v34
	s_delay_alu instid0(VALU_DEP_1) | instskip(SKIP_1) | instid1(VALU_DEP_2)
	v_mul_u32_u24_e32 v36, 0xadc8, v34
	v_mul_u32_u24_e32 v34, 0xd47, v34
	v_sub_nc_u32_e32 v36, v35, v36
	s_delay_alu instid0(VALU_DEP_2) | instskip(NEXT) | instid1(VALU_DEP_2)
	v_xor_b32_e32 v37, 0x7fffffff, v34
	v_mul_lo_u32 v36, 0xbc8f, v36
	v_sub_nc_u32_e32 v38, 0, v34
	s_delay_alu instid0(VALU_DEP_2) | instskip(NEXT) | instid1(VALU_DEP_2)
	v_cmp_lt_u32_e32 vcc_lo, v36, v34
	v_dual_cndmask_b32 v34, v38, v37, vcc_lo :: v_dual_add_f32 v38, 1.0, v23
	s_delay_alu instid0(VALU_DEP_1) | instskip(NEXT) | instid1(VALU_DEP_1)
	v_add_nc_u32_e32 v36, v34, v36
	v_mul_hi_u32 v34, 0xbc8f1391, v36
	s_delay_alu instid0(VALU_DEP_1) | instskip(NEXT) | instid1(VALU_DEP_1)
	v_lshrrev_b32_e32 v34, 15, v34
	v_mul_u32_u24_e32 v37, 0xadc8, v34
	v_mul_u32_u24_e32 v39, 0xd47, v34
	v_cvt_f32_u32_e32 v34, v33
	s_delay_alu instid0(VALU_DEP_3) | instskip(NEXT) | instid1(VALU_DEP_3)
	v_sub_nc_u32_e32 v37, v36, v37
	v_xor_b32_e32 v33, 0x7fffffff, v39
	v_dual_sub_nc_u32 v40, 0, v39 :: v_dual_add_nc_u32 v36, -1, v36
	s_delay_alu instid0(VALU_DEP_3) | instskip(NEXT) | instid1(VALU_DEP_2)
	v_mul_lo_u32 v37, 0xbc8f, v37
	v_cvt_f32_u32_e32 v36, v36
	s_delay_alu instid0(VALU_DEP_2) | instskip(NEXT) | instid1(VALU_DEP_4)
	v_cmp_lt_u32_e32 vcc_lo, v37, v39
	v_dual_add_nc_u32 v35, -1, v35 :: v_dual_cndmask_b32 v33, v40, v33, vcc_lo
	s_delay_alu instid0(VALU_DEP_1) | instskip(NEXT) | instid1(VALU_DEP_2)
	v_cvt_f32_u32_e32 v35, v35
	v_add_nc_u32_e32 v33, v33, v37
	s_delay_alu instid0(VALU_DEP_2) | instskip(NEXT) | instid1(VALU_DEP_1)
	v_pk_fma_f32 v[34:35], v[34:35], s[28:29], 0 op_sel_hi:[1,0,0]
	v_pk_mul_f32 v[34:35], v[34:35], v[34:35]
	s_delay_alu instid0(VALU_DEP_1) | instskip(NEXT) | instid1(VALU_DEP_1)
	v_dual_add_nc_u32 v37, -1, v33 :: v_dual_add_f32 v39, v34, v35
	v_cvt_f32_u32_e32 v37, v37
	s_delay_alu instid0(VALU_DEP_2) | instskip(NEXT) | instid1(VALU_DEP_2)
	v_cmp_gt_f32_e32 vcc_lo, 0xf800000, v39
	v_pk_fma_f32 v[34:35], v[36:37], s[28:29], 0 op_sel_hi:[1,0,0]
	s_add_co_i32 s29, s29, -2
	s_delay_alu instid0(SALU_CYCLE_1) | instskip(NEXT) | instid1(VALU_DEP_1)
	s_cmp_lg_u32 s29, 0
	v_pk_mul_f32 v[34:35], v[34:35], v[34:35]
	s_delay_alu instid0(VALU_DEP_1) | instskip(NEXT) | instid1(VALU_DEP_1)
	v_add_f32_e32 v34, v34, v35
	v_dual_mul_f32 v36, 0x4f800000, v39 :: v_dual_mul_f32 v37, 0x4f800000, v34
	s_delay_alu instid0(VALU_DEP_1) | instskip(SKIP_1) | instid1(VALU_DEP_2)
	v_cndmask_b32_e32 v36, v39, v36, vcc_lo
	v_cmp_gt_f32_e64 s25, 0xf800000, v34
	v_sqrt_f32_e32 v35, v36
	v_nop
	s_delay_alu instid0(TRANS32_DEP_1) | instskip(NEXT) | instid1(VALU_DEP_1)
	v_dual_add_nc_u32 v39, -1, v35 :: v_dual_cndmask_b32 v34, v34, v37, s25
	v_dual_add_nc_u32 v37, 1, v35 :: v_dual_fma_f32 v40, -v39, v35, v36
	s_delay_alu instid0(VALU_DEP_2) | instskip(NEXT) | instid1(VALU_DEP_1)
	v_sqrt_f32_e32 v41, v34
	v_fma_f32 v42, -v37, v35, v36
	s_delay_alu instid0(VALU_DEP_2)
	v_cmp_ge_f32_e64 s26, 0, v40
	s_delay_alu instid0(TRANS32_DEP_1) | instid1(VALU_DEP_1)
	v_dual_cndmask_b32 v35, v35, v39, s26 :: v_dual_add_nc_u32 v39, -1, v41
	s_delay_alu instid0(VALU_DEP_3) | instskip(NEXT) | instid1(VALU_DEP_1)
	v_cmp_lt_f32_e64 s26, 0, v42
	v_cndmask_b32_e64 v35, v35, v37, s26
	s_delay_alu instid0(VALU_DEP_3) | instskip(NEXT) | instid1(VALU_DEP_1)
	v_dual_add_nc_u32 v37, 1, v41 :: v_dual_fma_f32 v40, -v39, v41, v34
	v_fma_f32 v43, -v37, v41, v34
	s_delay_alu instid0(VALU_DEP_2) | instskip(NEXT) | instid1(VALU_DEP_1)
	v_cmp_ge_f32_e64 s26, 0, v40
	v_cndmask_b32_e64 v39, v41, v39, s26
	v_mul_f32_e32 v42, 0x37800000, v35
	s_delay_alu instid0(VALU_DEP_4) | instskip(NEXT) | instid1(VALU_DEP_1)
	v_cmp_lt_f32_e64 s26, 0, v43
	v_cndmask_b32_e64 v37, v39, v37, s26
	s_delay_alu instid0(VALU_DEP_3) | instskip(SKIP_1) | instid1(VALU_DEP_2)
	v_cndmask_b32_e32 v35, v35, v42, vcc_lo
	v_cmp_class_f32_e64 vcc_lo, v36, 0x260
	v_cndmask_b32_e32 v35, v35, v36, vcc_lo
	s_delay_alu instid0(VALU_DEP_1) | instskip(SKIP_2) | instid1(VALU_DEP_2)
	v_cmp_nge_f32_e32 vcc_lo, 1.0, v35
	v_dual_cndmask_b32 v23, v38, v23 :: v_dual_mul_f32 v36, 0x37800000, v37
	v_cmp_class_f32_e64 vcc_lo, v34, 0x260
	v_dual_cndmask_b32 v35, v37, v36, s25 :: v_dual_add_f32 v36, 1.0, v23
	s_delay_alu instid0(VALU_DEP_1) | instskip(NEXT) | instid1(VALU_DEP_1)
	v_cndmask_b32_e32 v34, v35, v34, vcc_lo
	v_cmp_nge_f32_e32 vcc_lo, 1.0, v34
	s_delay_alu instid0(VALU_DEP_3)
	v_cndmask_b32_e32 v23, v36, v23, vcc_lo
	s_cbranch_scc1 .LBB27_214
; %bb.215:
	s_delay_alu instid0(VALU_DEP_1) | instskip(NEXT) | instid1(VALU_DEP_1)
	v_mul_f32_e32 v23, 4.0, v23
	v_div_scale_f32 v33, null, 0x461c4000, 0x461c4000, v23
	s_delay_alu instid0(VALU_DEP_1) | instskip(SKIP_1) | instid1(TRANS32_DEP_1)
	v_rcp_f32_e32 v34, v33
	v_nop
	v_fma_f32 v35, -v33, v34, 1.0
	s_delay_alu instid0(VALU_DEP_1) | instskip(SKIP_1) | instid1(VALU_DEP_1)
	v_fmac_f32_e32 v34, v35, v34
	v_div_scale_f32 v35, vcc_lo, v23, 0x461c4000, v23
	v_mul_f32_e32 v36, v35, v34
	s_delay_alu instid0(VALU_DEP_1) | instskip(NEXT) | instid1(VALU_DEP_1)
	v_fma_f32 v37, -v33, v36, v35
	v_fmac_f32_e32 v36, v37, v34
	s_delay_alu instid0(VALU_DEP_1) | instskip(NEXT) | instid1(VALU_DEP_1)
	v_fma_f32 v33, -v33, v36, v35
	v_div_fmas_f32 v33, v33, v34, v36
	s_delay_alu instid0(VALU_DEP_1)
	v_div_fixup_f32 v23, v33, 0x461c4000, v23
.LBB27_216:
	s_or_b32 exec_lo, exec_lo, s27
	v_or_b32_e32 v33, 0x1800, v0
	s_delay_alu instid0(VALU_DEP_1)
	v_cmp_gt_u32_e64 s25, s46, v33
	s_and_saveexec_b32 s29, s25
	s_cbranch_execz .LBB27_220
; %bb.217:
	v_add_nc_u32_e32 v26, s35, v33
	s_movk_i32 s30, 0x2710
	s_brev_b32 s28, 12
	s_delay_alu instid0(VALU_DEP_1) | instskip(NEXT) | instid1(VALU_DEP_1)
	v_lshlrev_b32_e32 v33, 12, v26
	v_add3_u32 v26, v26, v33, 0x7ed55d16
	s_delay_alu instid0(VALU_DEP_1) | instskip(NEXT) | instid1(VALU_DEP_1)
	v_lshrrev_b32_e32 v33, 19, v26
	v_xor3_b32 v26, v26, v33, 0xc761c23c
	s_delay_alu instid0(VALU_DEP_1) | instskip(NEXT) | instid1(VALU_DEP_1)
	v_lshl_add_u32 v26, v26, 5, v26
	v_add_nc_u32_e32 v33, 0xe9f8cc1d, v26
	v_lshl_add_u32 v26, v26, 9, 0xaccf6200
	s_delay_alu instid0(VALU_DEP_1) | instskip(NEXT) | instid1(VALU_DEP_1)
	v_xor_b32_e32 v26, v33, v26
	v_lshlrev_b32_e32 v33, 3, v26
	s_delay_alu instid0(VALU_DEP_1) | instskip(NEXT) | instid1(VALU_DEP_1)
	v_add3_u32 v26, v26, v33, 0xfd7046c5
	v_lshrrev_b32_e32 v33, 16, v26
	s_delay_alu instid0(VALU_DEP_1) | instskip(NEXT) | instid1(VALU_DEP_1)
	v_xor3_b32 v26, v26, v33, 0xb55a4f09
	v_mul_hi_u32 v33, v26, 3
	s_delay_alu instid0(VALU_DEP_1) | instskip(NEXT) | instid1(VALU_DEP_1)
	v_sub_nc_u32_e32 v34, v26, v33
	v_lshrrev_b32_e32 v34, 1, v34
	s_delay_alu instid0(VALU_DEP_1) | instskip(NEXT) | instid1(VALU_DEP_1)
	v_add_nc_u32_e32 v33, v34, v33
	v_lshrrev_b32_e32 v33, 30, v33
	s_delay_alu instid0(VALU_DEP_1) | instskip(NEXT) | instid1(VALU_DEP_1)
	v_mul_lo_u32 v33, 0x7fffffff, v33
	v_sub_nc_u32_e32 v26, v26, v33
	s_delay_alu instid0(VALU_DEP_1)
	v_max_u32_e32 v33, 1, v26
	v_mov_b32_e32 v26, 0
.LBB27_218:                             ; =>This Inner Loop Header: Depth=1
	s_delay_alu instid0(VALU_DEP_2) | instskip(SKIP_1) | instid1(SALU_CYCLE_1)
	v_mul_hi_u32 v34, 0xbc8f1391, v33
	s_add_co_i32 s30, s30, -2
	s_cmp_lg_u32 s30, 0
	s_delay_alu instid0(VALU_DEP_1) | instskip(NEXT) | instid1(VALU_DEP_1)
	v_lshrrev_b32_e32 v34, 15, v34
	v_mul_u32_u24_e32 v35, 0xadc8, v34
	s_delay_alu instid0(VALU_DEP_1) | instskip(SKIP_1) | instid1(VALU_DEP_2)
	v_sub_nc_u32_e32 v33, v33, v35
	v_mul_u32_u24_e32 v34, 0xd47, v34
	v_mul_lo_u32 v33, 0xbc8f, v33
	s_delay_alu instid0(VALU_DEP_2) | instskip(SKIP_1) | instid1(VALU_DEP_3)
	v_xor_b32_e32 v35, 0x7fffffff, v34
	v_sub_nc_u32_e32 v36, 0, v34
	v_cmp_lt_u32_e32 vcc_lo, v33, v34
	s_delay_alu instid0(VALU_DEP_2) | instskip(NEXT) | instid1(VALU_DEP_1)
	v_cndmask_b32_e32 v34, v36, v35, vcc_lo
	v_add_nc_u32_e32 v33, v34, v33
	s_delay_alu instid0(VALU_DEP_1) | instskip(NEXT) | instid1(VALU_DEP_1)
	v_mul_hi_u32 v34, 0xbc8f1391, v33
	v_lshrrev_b32_e32 v34, 15, v34
	s_delay_alu instid0(VALU_DEP_1) | instskip(SKIP_1) | instid1(VALU_DEP_2)
	v_mul_u32_u24_e32 v35, 0xadc8, v34
	v_mul_u32_u24_e32 v34, 0xd47, v34
	v_sub_nc_u32_e32 v35, v33, v35
	s_delay_alu instid0(VALU_DEP_2) | instskip(SKIP_1) | instid1(VALU_DEP_3)
	v_xor_b32_e32 v36, 0x7fffffff, v34
	v_add_nc_u32_e32 v33, -1, v33
	v_mul_lo_u32 v35, 0xbc8f, v35
	v_sub_nc_u32_e32 v37, 0, v34
	s_delay_alu instid0(VALU_DEP_2) | instskip(NEXT) | instid1(VALU_DEP_2)
	v_cmp_lt_u32_e32 vcc_lo, v35, v34
	v_cndmask_b32_e32 v34, v37, v36, vcc_lo
	s_delay_alu instid0(VALU_DEP_1) | instskip(NEXT) | instid1(VALU_DEP_1)
	v_add_nc_u32_e32 v35, v34, v35
	v_mul_hi_u32 v34, 0xbc8f1391, v35
	s_delay_alu instid0(VALU_DEP_1) | instskip(NEXT) | instid1(VALU_DEP_1)
	v_lshrrev_b32_e32 v34, 15, v34
	v_mul_u32_u24_e32 v36, 0xadc8, v34
	v_mul_u32_u24_e32 v34, 0xd47, v34
	s_delay_alu instid0(VALU_DEP_2) | instskip(NEXT) | instid1(VALU_DEP_2)
	v_sub_nc_u32_e32 v36, v35, v36
	v_xor_b32_e32 v37, 0x7fffffff, v34
	s_delay_alu instid0(VALU_DEP_2) | instskip(SKIP_1) | instid1(VALU_DEP_2)
	v_mul_lo_u32 v36, 0xbc8f, v36
	v_sub_nc_u32_e32 v38, 0, v34
	v_cmp_lt_u32_e32 vcc_lo, v36, v34
	s_delay_alu instid0(VALU_DEP_2) | instskip(NEXT) | instid1(VALU_DEP_1)
	v_dual_cndmask_b32 v34, v38, v37, vcc_lo :: v_dual_add_f32 v38, 1.0, v26
	v_add_nc_u32_e32 v36, v34, v36
	s_delay_alu instid0(VALU_DEP_1) | instskip(NEXT) | instid1(VALU_DEP_1)
	v_mul_hi_u32 v34, 0xbc8f1391, v36
	v_lshrrev_b32_e32 v34, 15, v34
	s_delay_alu instid0(VALU_DEP_1) | instskip(SKIP_2) | instid1(VALU_DEP_3)
	v_mul_u32_u24_e32 v37, 0xadc8, v34
	v_mul_u32_u24_e32 v39, 0xd47, v34
	v_cvt_f32_u32_e32 v34, v33
	v_sub_nc_u32_e32 v37, v36, v37
	s_delay_alu instid0(VALU_DEP_3) | instskip(SKIP_1) | instid1(VALU_DEP_3)
	v_xor_b32_e32 v33, 0x7fffffff, v39
	v_dual_sub_nc_u32 v40, 0, v39 :: v_dual_add_nc_u32 v36, -1, v36
	v_mul_lo_u32 v37, 0xbc8f, v37
	s_delay_alu instid0(VALU_DEP_2) | instskip(NEXT) | instid1(VALU_DEP_2)
	v_cvt_f32_u32_e32 v36, v36
	v_cmp_lt_u32_e32 vcc_lo, v37, v39
	s_delay_alu instid0(VALU_DEP_4) | instskip(NEXT) | instid1(VALU_DEP_1)
	v_dual_add_nc_u32 v35, -1, v35 :: v_dual_cndmask_b32 v33, v40, v33, vcc_lo
	v_cvt_f32_u32_e32 v35, v35
	s_delay_alu instid0(VALU_DEP_2) | instskip(NEXT) | instid1(VALU_DEP_2)
	v_add_nc_u32_e32 v33, v33, v37
	v_pk_fma_f32 v[34:35], v[34:35], s[28:29], 0 op_sel_hi:[1,0,0]
	s_delay_alu instid0(VALU_DEP_1) | instskip(NEXT) | instid1(VALU_DEP_1)
	v_pk_mul_f32 v[34:35], v[34:35], v[34:35]
	v_dual_add_nc_u32 v37, -1, v33 :: v_dual_add_f32 v39, v34, v35
	s_delay_alu instid0(VALU_DEP_1) | instskip(NEXT) | instid1(VALU_DEP_2)
	v_cvt_f32_u32_e32 v37, v37
	v_cmp_gt_f32_e32 vcc_lo, 0xf800000, v39
	s_delay_alu instid0(VALU_DEP_2) | instskip(NEXT) | instid1(VALU_DEP_1)
	v_pk_fma_f32 v[34:35], v[36:37], s[28:29], 0 op_sel_hi:[1,0,0]
	v_pk_mul_f32 v[34:35], v[34:35], v[34:35]
	s_delay_alu instid0(VALU_DEP_1) | instskip(NEXT) | instid1(VALU_DEP_1)
	v_add_f32_e32 v34, v34, v35
	v_dual_mul_f32 v36, 0x4f800000, v39 :: v_dual_mul_f32 v37, 0x4f800000, v34
	s_delay_alu instid0(VALU_DEP_1) | instskip(SKIP_1) | instid1(VALU_DEP_2)
	v_cndmask_b32_e32 v36, v39, v36, vcc_lo
	v_cmp_gt_f32_e64 s26, 0xf800000, v34
	v_sqrt_f32_e32 v35, v36
	v_nop
	s_delay_alu instid0(TRANS32_DEP_1) | instskip(NEXT) | instid1(VALU_DEP_1)
	v_dual_add_nc_u32 v39, -1, v35 :: v_dual_cndmask_b32 v34, v34, v37, s26
	v_dual_add_nc_u32 v37, 1, v35 :: v_dual_fma_f32 v40, -v39, v35, v36
	s_delay_alu instid0(VALU_DEP_2) | instskip(NEXT) | instid1(VALU_DEP_1)
	v_sqrt_f32_e32 v41, v34
	v_fma_f32 v42, -v37, v35, v36
	s_delay_alu instid0(VALU_DEP_2)
	v_cmp_ge_f32_e64 s27, 0, v40
	s_delay_alu instid0(TRANS32_DEP_1) | instid1(VALU_DEP_1)
	v_dual_cndmask_b32 v35, v35, v39, s27 :: v_dual_add_nc_u32 v39, -1, v41
	s_delay_alu instid0(VALU_DEP_3) | instskip(NEXT) | instid1(VALU_DEP_1)
	v_cmp_lt_f32_e64 s27, 0, v42
	v_cndmask_b32_e64 v35, v35, v37, s27
	s_delay_alu instid0(VALU_DEP_3) | instskip(NEXT) | instid1(VALU_DEP_1)
	v_dual_add_nc_u32 v37, 1, v41 :: v_dual_fma_f32 v40, -v39, v41, v34
	v_fma_f32 v43, -v37, v41, v34
	s_delay_alu instid0(VALU_DEP_2) | instskip(NEXT) | instid1(VALU_DEP_1)
	v_cmp_ge_f32_e64 s27, 0, v40
	v_cndmask_b32_e64 v39, v41, v39, s27
	v_mul_f32_e32 v42, 0x37800000, v35
	s_delay_alu instid0(VALU_DEP_4) | instskip(NEXT) | instid1(VALU_DEP_1)
	v_cmp_lt_f32_e64 s27, 0, v43
	v_cndmask_b32_e64 v37, v39, v37, s27
	s_delay_alu instid0(VALU_DEP_3) | instskip(SKIP_1) | instid1(VALU_DEP_2)
	v_cndmask_b32_e32 v35, v35, v42, vcc_lo
	v_cmp_class_f32_e64 vcc_lo, v36, 0x260
	v_cndmask_b32_e32 v35, v35, v36, vcc_lo
	s_delay_alu instid0(VALU_DEP_1) | instskip(SKIP_3) | instid1(VALU_DEP_2)
	v_cmp_nge_f32_e32 vcc_lo, 1.0, v35
	v_cndmask_b32_e32 v26, v38, v26, vcc_lo
	v_mul_f32_e32 v36, 0x37800000, v37
	v_cmp_class_f32_e64 vcc_lo, v34, 0x260
	v_dual_cndmask_b32 v35, v37, v36, s26 :: v_dual_add_f32 v36, 1.0, v26
	s_delay_alu instid0(VALU_DEP_1) | instskip(NEXT) | instid1(VALU_DEP_1)
	v_cndmask_b32_e32 v34, v35, v34, vcc_lo
	v_cmp_nge_f32_e32 vcc_lo, 1.0, v34
	s_delay_alu instid0(VALU_DEP_3)
	v_cndmask_b32_e32 v26, v36, v26, vcc_lo
	s_cbranch_scc1 .LBB27_218
; %bb.219:
	s_delay_alu instid0(VALU_DEP_1) | instskip(NEXT) | instid1(VALU_DEP_1)
	v_mul_f32_e32 v26, 4.0, v26
	v_div_scale_f32 v33, null, 0x461c4000, 0x461c4000, v26
	s_delay_alu instid0(VALU_DEP_1) | instskip(SKIP_1) | instid1(TRANS32_DEP_1)
	v_rcp_f32_e32 v34, v33
	v_nop
	v_fma_f32 v35, -v33, v34, 1.0
	s_delay_alu instid0(VALU_DEP_1) | instskip(SKIP_1) | instid1(VALU_DEP_1)
	v_fmac_f32_e32 v34, v35, v34
	v_div_scale_f32 v35, vcc_lo, v26, 0x461c4000, v26
	v_mul_f32_e32 v36, v35, v34
	s_delay_alu instid0(VALU_DEP_1) | instskip(NEXT) | instid1(VALU_DEP_1)
	v_fma_f32 v37, -v33, v36, v35
	v_fmac_f32_e32 v36, v37, v34
	s_delay_alu instid0(VALU_DEP_1) | instskip(NEXT) | instid1(VALU_DEP_1)
	v_fma_f32 v33, -v33, v36, v35
	v_div_fmas_f32 v33, v33, v34, v36
	s_delay_alu instid0(VALU_DEP_1)
	v_div_fixup_f32 v26, v33, 0x461c4000, v26
.LBB27_220:
	s_or_b32 exec_lo, exec_lo, s29
	v_or_b32_e32 v33, 0x1900, v0
	s_delay_alu instid0(VALU_DEP_1)
	v_cmp_gt_u32_e64 s26, s46, v33
	s_and_saveexec_b32 s29, s26
	s_cbranch_execz .LBB27_224
; %bb.221:
	v_add_nc_u32_e32 v25, s35, v33
	s_movk_i32 s31, 0x2710
	s_brev_b32 s30, 12
	s_delay_alu instid0(VALU_DEP_1) | instskip(NEXT) | instid1(VALU_DEP_1)
	v_lshlrev_b32_e32 v33, 12, v25
	v_add3_u32 v25, v25, v33, 0x7ed55d16
	s_delay_alu instid0(VALU_DEP_1) | instskip(NEXT) | instid1(VALU_DEP_1)
	v_lshrrev_b32_e32 v33, 19, v25
	v_xor3_b32 v25, v25, v33, 0xc761c23c
	s_delay_alu instid0(VALU_DEP_1) | instskip(NEXT) | instid1(VALU_DEP_1)
	v_lshl_add_u32 v25, v25, 5, v25
	v_add_nc_u32_e32 v33, 0xe9f8cc1d, v25
	v_lshl_add_u32 v25, v25, 9, 0xaccf6200
	s_delay_alu instid0(VALU_DEP_1) | instskip(NEXT) | instid1(VALU_DEP_1)
	v_xor_b32_e32 v25, v33, v25
	v_lshlrev_b32_e32 v33, 3, v25
	s_delay_alu instid0(VALU_DEP_1) | instskip(NEXT) | instid1(VALU_DEP_1)
	v_add3_u32 v25, v25, v33, 0xfd7046c5
	v_lshrrev_b32_e32 v33, 16, v25
	s_delay_alu instid0(VALU_DEP_1) | instskip(NEXT) | instid1(VALU_DEP_1)
	v_xor3_b32 v25, v25, v33, 0xb55a4f09
	v_mul_hi_u32 v33, v25, 3
	s_delay_alu instid0(VALU_DEP_1) | instskip(NEXT) | instid1(VALU_DEP_1)
	v_sub_nc_u32_e32 v34, v25, v33
	v_lshrrev_b32_e32 v34, 1, v34
	s_delay_alu instid0(VALU_DEP_1) | instskip(NEXT) | instid1(VALU_DEP_1)
	v_add_nc_u32_e32 v33, v34, v33
	v_lshrrev_b32_e32 v33, 30, v33
	s_delay_alu instid0(VALU_DEP_1) | instskip(NEXT) | instid1(VALU_DEP_1)
	v_mul_lo_u32 v33, 0x7fffffff, v33
	v_sub_nc_u32_e32 v25, v25, v33
	s_delay_alu instid0(VALU_DEP_1)
	v_max_u32_e32 v33, 1, v25
	v_mov_b32_e32 v25, 0
.LBB27_222:                             ; =>This Inner Loop Header: Depth=1
	s_delay_alu instid0(VALU_DEP_2) | instskip(NEXT) | instid1(VALU_DEP_1)
	v_mul_hi_u32 v34, 0xbc8f1391, v33
	v_lshrrev_b32_e32 v34, 15, v34
	s_delay_alu instid0(VALU_DEP_1) | instskip(NEXT) | instid1(VALU_DEP_1)
	v_mul_u32_u24_e32 v35, 0xadc8, v34
	v_sub_nc_u32_e32 v33, v33, v35
	v_mul_u32_u24_e32 v34, 0xd47, v34
	s_delay_alu instid0(VALU_DEP_2) | instskip(NEXT) | instid1(VALU_DEP_2)
	v_mul_lo_u32 v33, 0xbc8f, v33
	v_xor_b32_e32 v35, 0x7fffffff, v34
	v_sub_nc_u32_e32 v36, 0, v34
	s_delay_alu instid0(VALU_DEP_3) | instskip(NEXT) | instid1(VALU_DEP_2)
	v_cmp_lt_u32_e32 vcc_lo, v33, v34
	v_cndmask_b32_e32 v34, v36, v35, vcc_lo
	s_delay_alu instid0(VALU_DEP_1) | instskip(NEXT) | instid1(VALU_DEP_1)
	v_add_nc_u32_e32 v33, v34, v33
	v_mul_hi_u32 v34, 0xbc8f1391, v33
	s_delay_alu instid0(VALU_DEP_1) | instskip(NEXT) | instid1(VALU_DEP_1)
	v_lshrrev_b32_e32 v34, 15, v34
	v_mul_u32_u24_e32 v35, 0xadc8, v34
	v_mul_u32_u24_e32 v34, 0xd47, v34
	s_delay_alu instid0(VALU_DEP_2) | instskip(NEXT) | instid1(VALU_DEP_2)
	v_sub_nc_u32_e32 v35, v33, v35
	v_xor_b32_e32 v36, 0x7fffffff, v34
	v_add_nc_u32_e32 v33, -1, v33
	s_delay_alu instid0(VALU_DEP_3) | instskip(SKIP_1) | instid1(VALU_DEP_2)
	v_mul_lo_u32 v35, 0xbc8f, v35
	v_sub_nc_u32_e32 v37, 0, v34
	v_cmp_lt_u32_e32 vcc_lo, v35, v34
	s_delay_alu instid0(VALU_DEP_2) | instskip(NEXT) | instid1(VALU_DEP_1)
	v_cndmask_b32_e32 v34, v37, v36, vcc_lo
	v_add_nc_u32_e32 v35, v34, v35
	s_delay_alu instid0(VALU_DEP_1) | instskip(NEXT) | instid1(VALU_DEP_1)
	v_mul_hi_u32 v34, 0xbc8f1391, v35
	v_lshrrev_b32_e32 v34, 15, v34
	s_delay_alu instid0(VALU_DEP_1) | instskip(SKIP_1) | instid1(VALU_DEP_2)
	v_mul_u32_u24_e32 v36, 0xadc8, v34
	v_mul_u32_u24_e32 v34, 0xd47, v34
	v_sub_nc_u32_e32 v36, v35, v36
	s_delay_alu instid0(VALU_DEP_2) | instskip(NEXT) | instid1(VALU_DEP_2)
	v_xor_b32_e32 v37, 0x7fffffff, v34
	v_mul_lo_u32 v36, 0xbc8f, v36
	v_sub_nc_u32_e32 v38, 0, v34
	s_delay_alu instid0(VALU_DEP_2) | instskip(NEXT) | instid1(VALU_DEP_2)
	v_cmp_lt_u32_e32 vcc_lo, v36, v34
	v_cndmask_b32_e32 v34, v38, v37, vcc_lo
	s_delay_alu instid0(VALU_DEP_1) | instskip(NEXT) | instid1(VALU_DEP_1)
	v_dual_add_f32 v38, 1.0, v25 :: v_dual_add_nc_u32 v36, v34, v36
	v_mul_hi_u32 v34, 0xbc8f1391, v36
	s_delay_alu instid0(VALU_DEP_1) | instskip(NEXT) | instid1(VALU_DEP_1)
	v_lshrrev_b32_e32 v34, 15, v34
	v_mul_u32_u24_e32 v37, 0xadc8, v34
	v_mul_u32_u24_e32 v39, 0xd47, v34
	v_cvt_f32_u32_e32 v34, v33
	s_delay_alu instid0(VALU_DEP_3) | instskip(NEXT) | instid1(VALU_DEP_3)
	v_sub_nc_u32_e32 v37, v36, v37
	v_xor_b32_e32 v33, 0x7fffffff, v39
	v_dual_sub_nc_u32 v40, 0, v39 :: v_dual_add_nc_u32 v36, -1, v36
	s_delay_alu instid0(VALU_DEP_3) | instskip(NEXT) | instid1(VALU_DEP_2)
	v_mul_lo_u32 v37, 0xbc8f, v37
	v_cvt_f32_u32_e32 v36, v36
	s_delay_alu instid0(VALU_DEP_2) | instskip(NEXT) | instid1(VALU_DEP_4)
	v_cmp_lt_u32_e32 vcc_lo, v37, v39
	v_dual_add_nc_u32 v35, -1, v35 :: v_dual_cndmask_b32 v33, v40, v33, vcc_lo
	s_delay_alu instid0(VALU_DEP_1) | instskip(NEXT) | instid1(VALU_DEP_2)
	v_cvt_f32_u32_e32 v35, v35
	v_add_nc_u32_e32 v33, v33, v37
	s_delay_alu instid0(VALU_DEP_2) | instskip(NEXT) | instid1(VALU_DEP_1)
	v_pk_fma_f32 v[34:35], v[34:35], s[30:31], 0 op_sel_hi:[1,0,0]
	v_pk_mul_f32 v[34:35], v[34:35], v[34:35]
	s_delay_alu instid0(VALU_DEP_1) | instskip(NEXT) | instid1(VALU_DEP_1)
	v_dual_add_nc_u32 v37, -1, v33 :: v_dual_add_f32 v39, v34, v35
	v_cvt_f32_u32_e32 v37, v37
	s_delay_alu instid0(VALU_DEP_2) | instskip(NEXT) | instid1(VALU_DEP_2)
	v_cmp_gt_f32_e32 vcc_lo, 0xf800000, v39
	v_pk_fma_f32 v[34:35], v[36:37], s[30:31], 0 op_sel_hi:[1,0,0]
	s_add_co_i32 s31, s31, -2
	s_delay_alu instid0(SALU_CYCLE_1) | instskip(NEXT) | instid1(VALU_DEP_1)
	s_cmp_lg_u32 s31, 0
	v_pk_mul_f32 v[34:35], v[34:35], v[34:35]
	s_delay_alu instid0(VALU_DEP_1) | instskip(NEXT) | instid1(VALU_DEP_1)
	v_add_f32_e32 v34, v34, v35
	v_dual_mul_f32 v36, 0x4f800000, v39 :: v_dual_mul_f32 v37, 0x4f800000, v34
	s_delay_alu instid0(VALU_DEP_1) | instskip(SKIP_1) | instid1(VALU_DEP_2)
	v_cndmask_b32_e32 v36, v39, v36, vcc_lo
	v_cmp_gt_f32_e64 s27, 0xf800000, v34
	v_sqrt_f32_e32 v35, v36
	v_nop
	s_delay_alu instid0(TRANS32_DEP_1) | instskip(NEXT) | instid1(VALU_DEP_1)
	v_dual_add_nc_u32 v39, -1, v35 :: v_dual_cndmask_b32 v34, v34, v37, s27
	v_dual_add_nc_u32 v37, 1, v35 :: v_dual_fma_f32 v40, -v39, v35, v36
	s_delay_alu instid0(VALU_DEP_2) | instskip(NEXT) | instid1(VALU_DEP_1)
	v_sqrt_f32_e32 v41, v34
	v_fma_f32 v42, -v37, v35, v36
	s_delay_alu instid0(VALU_DEP_2)
	v_cmp_ge_f32_e64 s28, 0, v40
	s_delay_alu instid0(TRANS32_DEP_1) | instid1(VALU_DEP_1)
	v_dual_cndmask_b32 v35, v35, v39, s28 :: v_dual_add_nc_u32 v39, -1, v41
	s_delay_alu instid0(VALU_DEP_3) | instskip(NEXT) | instid1(VALU_DEP_1)
	v_cmp_lt_f32_e64 s28, 0, v42
	v_cndmask_b32_e64 v35, v35, v37, s28
	s_delay_alu instid0(VALU_DEP_3) | instskip(NEXT) | instid1(VALU_DEP_1)
	v_dual_add_nc_u32 v37, 1, v41 :: v_dual_fma_f32 v40, -v39, v41, v34
	v_fma_f32 v43, -v37, v41, v34
	s_delay_alu instid0(VALU_DEP_2) | instskip(NEXT) | instid1(VALU_DEP_1)
	v_cmp_ge_f32_e64 s28, 0, v40
	v_cndmask_b32_e64 v39, v41, v39, s28
	v_mul_f32_e32 v42, 0x37800000, v35
	s_delay_alu instid0(VALU_DEP_4) | instskip(NEXT) | instid1(VALU_DEP_1)
	v_cmp_lt_f32_e64 s28, 0, v43
	v_cndmask_b32_e64 v37, v39, v37, s28
	s_delay_alu instid0(VALU_DEP_3) | instskip(SKIP_1) | instid1(VALU_DEP_2)
	v_cndmask_b32_e32 v35, v35, v42, vcc_lo
	v_cmp_class_f32_e64 vcc_lo, v36, 0x260
	v_dual_cndmask_b32 v35, v35, v36 :: v_dual_mul_f32 v36, 0x37800000, v37
	s_delay_alu instid0(VALU_DEP_1) | instskip(NEXT) | instid1(VALU_DEP_2)
	v_cmp_nge_f32_e32 vcc_lo, 1.0, v35
	v_dual_cndmask_b32 v35, v37, v36, s27 :: v_dual_cndmask_b32 v25, v38, v25, vcc_lo
	v_cmp_class_f32_e64 vcc_lo, v34, 0x260
	s_delay_alu instid0(VALU_DEP_1) | instskip(NEXT) | instid1(VALU_DEP_1)
	v_dual_add_f32 v36, 1.0, v25 :: v_dual_cndmask_b32 v34, v35, v34, vcc_lo
	v_cmp_nge_f32_e32 vcc_lo, 1.0, v34
	s_delay_alu instid0(VALU_DEP_2)
	v_cndmask_b32_e32 v25, v36, v25, vcc_lo
	s_cbranch_scc1 .LBB27_222
; %bb.223:
	s_delay_alu instid0(VALU_DEP_1) | instskip(NEXT) | instid1(VALU_DEP_1)
	v_mul_f32_e32 v25, 4.0, v25
	v_div_scale_f32 v33, null, 0x461c4000, 0x461c4000, v25
	s_delay_alu instid0(VALU_DEP_1) | instskip(SKIP_1) | instid1(TRANS32_DEP_1)
	v_rcp_f32_e32 v34, v33
	v_nop
	v_fma_f32 v35, -v33, v34, 1.0
	s_delay_alu instid0(VALU_DEP_1) | instskip(SKIP_1) | instid1(VALU_DEP_1)
	v_fmac_f32_e32 v34, v35, v34
	v_div_scale_f32 v35, vcc_lo, v25, 0x461c4000, v25
	v_mul_f32_e32 v36, v35, v34
	s_delay_alu instid0(VALU_DEP_1) | instskip(NEXT) | instid1(VALU_DEP_1)
	v_fma_f32 v37, -v33, v36, v35
	v_fmac_f32_e32 v36, v37, v34
	s_delay_alu instid0(VALU_DEP_1) | instskip(NEXT) | instid1(VALU_DEP_1)
	v_fma_f32 v33, -v33, v36, v35
	v_div_fmas_f32 v33, v33, v34, v36
	s_delay_alu instid0(VALU_DEP_1)
	v_div_fixup_f32 v25, v33, 0x461c4000, v25
.LBB27_224:
	s_or_b32 exec_lo, exec_lo, s29
	v_or_b32_e32 v33, 0x1a00, v0
	s_delay_alu instid0(VALU_DEP_1)
	v_cmp_gt_u32_e64 s27, s46, v33
	s_and_saveexec_b32 s31, s27
	s_cbranch_execz .LBB27_228
; %bb.225:
	v_add_nc_u32_e32 v28, s35, v33
	s_movk_i32 s33, 0x2710
	s_brev_b32 s30, 12
	s_delay_alu instid0(VALU_DEP_1) | instskip(NEXT) | instid1(VALU_DEP_1)
	v_lshlrev_b32_e32 v33, 12, v28
	v_add3_u32 v28, v28, v33, 0x7ed55d16
	s_delay_alu instid0(VALU_DEP_1) | instskip(NEXT) | instid1(VALU_DEP_1)
	v_lshrrev_b32_e32 v33, 19, v28
	v_xor3_b32 v28, v28, v33, 0xc761c23c
	s_delay_alu instid0(VALU_DEP_1) | instskip(NEXT) | instid1(VALU_DEP_1)
	v_lshl_add_u32 v28, v28, 5, v28
	v_add_nc_u32_e32 v33, 0xe9f8cc1d, v28
	v_lshl_add_u32 v28, v28, 9, 0xaccf6200
	s_delay_alu instid0(VALU_DEP_1) | instskip(NEXT) | instid1(VALU_DEP_1)
	v_xor_b32_e32 v28, v33, v28
	v_lshlrev_b32_e32 v33, 3, v28
	s_delay_alu instid0(VALU_DEP_1) | instskip(NEXT) | instid1(VALU_DEP_1)
	v_add3_u32 v28, v28, v33, 0xfd7046c5
	v_lshrrev_b32_e32 v33, 16, v28
	s_delay_alu instid0(VALU_DEP_1) | instskip(NEXT) | instid1(VALU_DEP_1)
	v_xor3_b32 v28, v28, v33, 0xb55a4f09
	v_mul_hi_u32 v33, v28, 3
	s_delay_alu instid0(VALU_DEP_1) | instskip(NEXT) | instid1(VALU_DEP_1)
	v_sub_nc_u32_e32 v34, v28, v33
	v_lshrrev_b32_e32 v34, 1, v34
	s_delay_alu instid0(VALU_DEP_1) | instskip(NEXT) | instid1(VALU_DEP_1)
	v_add_nc_u32_e32 v33, v34, v33
	v_lshrrev_b32_e32 v33, 30, v33
	s_delay_alu instid0(VALU_DEP_1) | instskip(NEXT) | instid1(VALU_DEP_1)
	v_mul_lo_u32 v33, 0x7fffffff, v33
	v_sub_nc_u32_e32 v28, v28, v33
	s_delay_alu instid0(VALU_DEP_1)
	v_max_u32_e32 v33, 1, v28
	v_mov_b32_e32 v28, 0
.LBB27_226:                             ; =>This Inner Loop Header: Depth=1
	s_delay_alu instid0(VALU_DEP_2) | instskip(SKIP_1) | instid1(SALU_CYCLE_1)
	v_mul_hi_u32 v34, 0xbc8f1391, v33
	s_add_co_i32 s33, s33, -2
	s_cmp_lg_u32 s33, 0
	s_delay_alu instid0(VALU_DEP_1) | instskip(NEXT) | instid1(VALU_DEP_1)
	v_lshrrev_b32_e32 v34, 15, v34
	v_mul_u32_u24_e32 v35, 0xadc8, v34
	s_delay_alu instid0(VALU_DEP_1) | instskip(SKIP_1) | instid1(VALU_DEP_2)
	v_sub_nc_u32_e32 v33, v33, v35
	v_mul_u32_u24_e32 v34, 0xd47, v34
	v_mul_lo_u32 v33, 0xbc8f, v33
	s_delay_alu instid0(VALU_DEP_2) | instskip(SKIP_1) | instid1(VALU_DEP_3)
	v_xor_b32_e32 v35, 0x7fffffff, v34
	v_sub_nc_u32_e32 v36, 0, v34
	v_cmp_lt_u32_e32 vcc_lo, v33, v34
	s_delay_alu instid0(VALU_DEP_2) | instskip(NEXT) | instid1(VALU_DEP_1)
	v_cndmask_b32_e32 v34, v36, v35, vcc_lo
	v_add_nc_u32_e32 v33, v34, v33
	s_delay_alu instid0(VALU_DEP_1) | instskip(NEXT) | instid1(VALU_DEP_1)
	v_mul_hi_u32 v34, 0xbc8f1391, v33
	v_lshrrev_b32_e32 v34, 15, v34
	s_delay_alu instid0(VALU_DEP_1) | instskip(SKIP_1) | instid1(VALU_DEP_2)
	v_mul_u32_u24_e32 v35, 0xadc8, v34
	v_mul_u32_u24_e32 v34, 0xd47, v34
	v_sub_nc_u32_e32 v35, v33, v35
	s_delay_alu instid0(VALU_DEP_2) | instskip(SKIP_1) | instid1(VALU_DEP_3)
	v_xor_b32_e32 v36, 0x7fffffff, v34
	v_add_nc_u32_e32 v33, -1, v33
	v_mul_lo_u32 v35, 0xbc8f, v35
	v_sub_nc_u32_e32 v37, 0, v34
	s_delay_alu instid0(VALU_DEP_2) | instskip(NEXT) | instid1(VALU_DEP_2)
	v_cmp_lt_u32_e32 vcc_lo, v35, v34
	v_cndmask_b32_e32 v34, v37, v36, vcc_lo
	s_delay_alu instid0(VALU_DEP_1) | instskip(NEXT) | instid1(VALU_DEP_1)
	v_add_nc_u32_e32 v35, v34, v35
	v_mul_hi_u32 v34, 0xbc8f1391, v35
	s_delay_alu instid0(VALU_DEP_1) | instskip(NEXT) | instid1(VALU_DEP_1)
	v_lshrrev_b32_e32 v34, 15, v34
	v_mul_u32_u24_e32 v36, 0xadc8, v34
	v_mul_u32_u24_e32 v34, 0xd47, v34
	s_delay_alu instid0(VALU_DEP_2) | instskip(NEXT) | instid1(VALU_DEP_2)
	v_sub_nc_u32_e32 v36, v35, v36
	v_xor_b32_e32 v37, 0x7fffffff, v34
	s_delay_alu instid0(VALU_DEP_2) | instskip(SKIP_1) | instid1(VALU_DEP_2)
	v_mul_lo_u32 v36, 0xbc8f, v36
	v_sub_nc_u32_e32 v38, 0, v34
	v_cmp_lt_u32_e32 vcc_lo, v36, v34
	s_delay_alu instid0(VALU_DEP_2) | instskip(NEXT) | instid1(VALU_DEP_1)
	v_dual_cndmask_b32 v34, v38, v37, vcc_lo :: v_dual_add_f32 v38, 1.0, v28
	v_add_nc_u32_e32 v36, v34, v36
	s_delay_alu instid0(VALU_DEP_1) | instskip(NEXT) | instid1(VALU_DEP_1)
	v_mul_hi_u32 v34, 0xbc8f1391, v36
	v_lshrrev_b32_e32 v34, 15, v34
	s_delay_alu instid0(VALU_DEP_1) | instskip(SKIP_2) | instid1(VALU_DEP_3)
	v_mul_u32_u24_e32 v37, 0xadc8, v34
	v_mul_u32_u24_e32 v39, 0xd47, v34
	v_cvt_f32_u32_e32 v34, v33
	v_sub_nc_u32_e32 v37, v36, v37
	s_delay_alu instid0(VALU_DEP_3) | instskip(SKIP_1) | instid1(VALU_DEP_3)
	v_xor_b32_e32 v33, 0x7fffffff, v39
	v_dual_sub_nc_u32 v40, 0, v39 :: v_dual_add_nc_u32 v36, -1, v36
	v_mul_lo_u32 v37, 0xbc8f, v37
	s_delay_alu instid0(VALU_DEP_2) | instskip(NEXT) | instid1(VALU_DEP_2)
	v_cvt_f32_u32_e32 v36, v36
	v_cmp_lt_u32_e32 vcc_lo, v37, v39
	s_delay_alu instid0(VALU_DEP_4) | instskip(NEXT) | instid1(VALU_DEP_1)
	v_dual_add_nc_u32 v35, -1, v35 :: v_dual_cndmask_b32 v33, v40, v33, vcc_lo
	v_cvt_f32_u32_e32 v35, v35
	s_delay_alu instid0(VALU_DEP_2) | instskip(NEXT) | instid1(VALU_DEP_2)
	v_add_nc_u32_e32 v33, v33, v37
	v_pk_fma_f32 v[34:35], v[34:35], s[30:31], 0 op_sel_hi:[1,0,0]
	s_delay_alu instid0(VALU_DEP_1) | instskip(NEXT) | instid1(VALU_DEP_1)
	v_pk_mul_f32 v[34:35], v[34:35], v[34:35]
	v_dual_add_nc_u32 v37, -1, v33 :: v_dual_add_f32 v39, v34, v35
	s_delay_alu instid0(VALU_DEP_1) | instskip(NEXT) | instid1(VALU_DEP_2)
	v_cvt_f32_u32_e32 v37, v37
	v_cmp_gt_f32_e32 vcc_lo, 0xf800000, v39
	s_delay_alu instid0(VALU_DEP_2) | instskip(NEXT) | instid1(VALU_DEP_1)
	v_pk_fma_f32 v[34:35], v[36:37], s[30:31], 0 op_sel_hi:[1,0,0]
	v_pk_mul_f32 v[34:35], v[34:35], v[34:35]
	s_delay_alu instid0(VALU_DEP_1) | instskip(NEXT) | instid1(VALU_DEP_1)
	v_add_f32_e32 v34, v34, v35
	v_dual_mul_f32 v36, 0x4f800000, v39 :: v_dual_mul_f32 v37, 0x4f800000, v34
	s_delay_alu instid0(VALU_DEP_1) | instskip(SKIP_1) | instid1(VALU_DEP_2)
	v_cndmask_b32_e32 v36, v39, v36, vcc_lo
	v_cmp_gt_f32_e64 s28, 0xf800000, v34
	v_sqrt_f32_e32 v35, v36
	v_nop
	s_delay_alu instid0(TRANS32_DEP_1) | instskip(NEXT) | instid1(VALU_DEP_1)
	v_dual_add_nc_u32 v39, -1, v35 :: v_dual_cndmask_b32 v34, v34, v37, s28
	v_dual_add_nc_u32 v37, 1, v35 :: v_dual_fma_f32 v40, -v39, v35, v36
	s_delay_alu instid0(VALU_DEP_2) | instskip(NEXT) | instid1(VALU_DEP_1)
	v_sqrt_f32_e32 v41, v34
	v_fma_f32 v42, -v37, v35, v36
	s_delay_alu instid0(VALU_DEP_2)
	v_cmp_ge_f32_e64 s29, 0, v40
	s_delay_alu instid0(TRANS32_DEP_1) | instid1(VALU_DEP_1)
	v_dual_cndmask_b32 v35, v35, v39, s29 :: v_dual_add_nc_u32 v39, -1, v41
	s_delay_alu instid0(VALU_DEP_3) | instskip(NEXT) | instid1(VALU_DEP_1)
	v_cmp_lt_f32_e64 s29, 0, v42
	v_cndmask_b32_e64 v35, v35, v37, s29
	s_delay_alu instid0(VALU_DEP_3) | instskip(NEXT) | instid1(VALU_DEP_1)
	v_dual_add_nc_u32 v37, 1, v41 :: v_dual_fma_f32 v40, -v39, v41, v34
	v_fma_f32 v43, -v37, v41, v34
	s_delay_alu instid0(VALU_DEP_2) | instskip(NEXT) | instid1(VALU_DEP_1)
	v_cmp_ge_f32_e64 s29, 0, v40
	v_cndmask_b32_e64 v39, v41, v39, s29
	v_mul_f32_e32 v42, 0x37800000, v35
	s_delay_alu instid0(VALU_DEP_4) | instskip(NEXT) | instid1(VALU_DEP_1)
	v_cmp_lt_f32_e64 s29, 0, v43
	v_cndmask_b32_e64 v37, v39, v37, s29
	s_delay_alu instid0(VALU_DEP_3) | instskip(SKIP_1) | instid1(VALU_DEP_2)
	v_cndmask_b32_e32 v35, v35, v42, vcc_lo
	v_cmp_class_f32_e64 vcc_lo, v36, 0x260
	v_cndmask_b32_e32 v35, v35, v36, vcc_lo
	s_delay_alu instid0(VALU_DEP_1) | instskip(SKIP_3) | instid1(VALU_DEP_2)
	v_cmp_nge_f32_e32 vcc_lo, 1.0, v35
	v_cndmask_b32_e32 v28, v38, v28, vcc_lo
	v_mul_f32_e32 v36, 0x37800000, v37
	v_cmp_class_f32_e64 vcc_lo, v34, 0x260
	v_cndmask_b32_e64 v35, v37, v36, s28
	s_delay_alu instid0(VALU_DEP_1) | instskip(NEXT) | instid1(VALU_DEP_1)
	v_dual_add_f32 v36, 1.0, v28 :: v_dual_cndmask_b32 v34, v35, v34, vcc_lo
	v_cmp_nge_f32_e32 vcc_lo, 1.0, v34
	s_delay_alu instid0(VALU_DEP_2)
	v_cndmask_b32_e32 v28, v36, v28, vcc_lo
	s_cbranch_scc1 .LBB27_226
; %bb.227:
	s_delay_alu instid0(VALU_DEP_1) | instskip(NEXT) | instid1(VALU_DEP_1)
	v_mul_f32_e32 v28, 4.0, v28
	v_div_scale_f32 v33, null, 0x461c4000, 0x461c4000, v28
	s_delay_alu instid0(VALU_DEP_1) | instskip(SKIP_1) | instid1(TRANS32_DEP_1)
	v_rcp_f32_e32 v34, v33
	v_nop
	v_fma_f32 v35, -v33, v34, 1.0
	s_delay_alu instid0(VALU_DEP_1) | instskip(SKIP_1) | instid1(VALU_DEP_1)
	v_fmac_f32_e32 v34, v35, v34
	v_div_scale_f32 v35, vcc_lo, v28, 0x461c4000, v28
	v_mul_f32_e32 v36, v35, v34
	s_delay_alu instid0(VALU_DEP_1) | instskip(NEXT) | instid1(VALU_DEP_1)
	v_fma_f32 v37, -v33, v36, v35
	v_fmac_f32_e32 v36, v37, v34
	s_delay_alu instid0(VALU_DEP_1) | instskip(NEXT) | instid1(VALU_DEP_1)
	v_fma_f32 v33, -v33, v36, v35
	v_div_fmas_f32 v33, v33, v34, v36
	s_delay_alu instid0(VALU_DEP_1)
	v_div_fixup_f32 v28, v33, 0x461c4000, v28
.LBB27_228:
	s_or_b32 exec_lo, exec_lo, s31
	v_or_b32_e32 v33, 0x1b00, v0
	s_delay_alu instid0(VALU_DEP_1)
	v_cmp_gt_u32_e64 s28, s46, v33
	s_and_saveexec_b32 s31, s28
	s_cbranch_execz .LBB27_232
; %bb.229:
	v_add_nc_u32_e32 v27, s35, v33
	s_movk_i32 s33, 0x2710
	s_brev_b32 s34, 12
	s_delay_alu instid0(VALU_DEP_1) | instskip(NEXT) | instid1(VALU_DEP_1)
	v_lshlrev_b32_e32 v33, 12, v27
	v_add3_u32 v27, v27, v33, 0x7ed55d16
	s_delay_alu instid0(VALU_DEP_1) | instskip(NEXT) | instid1(VALU_DEP_1)
	v_lshrrev_b32_e32 v33, 19, v27
	v_xor3_b32 v27, v27, v33, 0xc761c23c
	s_delay_alu instid0(VALU_DEP_1) | instskip(NEXT) | instid1(VALU_DEP_1)
	v_lshl_add_u32 v27, v27, 5, v27
	v_add_nc_u32_e32 v33, 0xe9f8cc1d, v27
	v_lshl_add_u32 v27, v27, 9, 0xaccf6200
	s_delay_alu instid0(VALU_DEP_1) | instskip(NEXT) | instid1(VALU_DEP_1)
	v_xor_b32_e32 v27, v33, v27
	v_lshlrev_b32_e32 v33, 3, v27
	s_delay_alu instid0(VALU_DEP_1) | instskip(NEXT) | instid1(VALU_DEP_1)
	v_add3_u32 v27, v27, v33, 0xfd7046c5
	v_lshrrev_b32_e32 v33, 16, v27
	s_delay_alu instid0(VALU_DEP_1) | instskip(NEXT) | instid1(VALU_DEP_1)
	v_xor3_b32 v27, v27, v33, 0xb55a4f09
	v_mul_hi_u32 v33, v27, 3
	s_delay_alu instid0(VALU_DEP_1) | instskip(NEXT) | instid1(VALU_DEP_1)
	v_sub_nc_u32_e32 v34, v27, v33
	v_lshrrev_b32_e32 v34, 1, v34
	s_delay_alu instid0(VALU_DEP_1) | instskip(NEXT) | instid1(VALU_DEP_1)
	v_add_nc_u32_e32 v33, v34, v33
	v_lshrrev_b32_e32 v33, 30, v33
	s_delay_alu instid0(VALU_DEP_1) | instskip(NEXT) | instid1(VALU_DEP_1)
	v_mul_lo_u32 v33, 0x7fffffff, v33
	v_sub_nc_u32_e32 v27, v27, v33
	s_delay_alu instid0(VALU_DEP_1)
	v_max_u32_e32 v33, 1, v27
	v_mov_b32_e32 v27, 0
.LBB27_230:                             ; =>This Inner Loop Header: Depth=1
	s_delay_alu instid0(VALU_DEP_2) | instskip(SKIP_1) | instid1(SALU_CYCLE_1)
	v_mul_hi_u32 v34, 0xbc8f1391, v33
	s_add_co_i32 s33, s33, -2
	s_cmp_lg_u32 s33, 0
	s_delay_alu instid0(VALU_DEP_1) | instskip(NEXT) | instid1(VALU_DEP_1)
	v_lshrrev_b32_e32 v34, 15, v34
	v_mul_u32_u24_e32 v35, 0xadc8, v34
	s_delay_alu instid0(VALU_DEP_1) | instskip(SKIP_1) | instid1(VALU_DEP_2)
	v_sub_nc_u32_e32 v33, v33, v35
	v_mul_u32_u24_e32 v34, 0xd47, v34
	v_mul_lo_u32 v33, 0xbc8f, v33
	s_delay_alu instid0(VALU_DEP_2) | instskip(SKIP_1) | instid1(VALU_DEP_3)
	v_xor_b32_e32 v35, 0x7fffffff, v34
	v_sub_nc_u32_e32 v36, 0, v34
	v_cmp_lt_u32_e32 vcc_lo, v33, v34
	s_delay_alu instid0(VALU_DEP_2) | instskip(NEXT) | instid1(VALU_DEP_1)
	v_cndmask_b32_e32 v34, v36, v35, vcc_lo
	v_add_nc_u32_e32 v33, v34, v33
	s_delay_alu instid0(VALU_DEP_1) | instskip(NEXT) | instid1(VALU_DEP_1)
	v_mul_hi_u32 v34, 0xbc8f1391, v33
	v_lshrrev_b32_e32 v34, 15, v34
	s_delay_alu instid0(VALU_DEP_1) | instskip(SKIP_1) | instid1(VALU_DEP_2)
	v_mul_u32_u24_e32 v35, 0xadc8, v34
	v_mul_u32_u24_e32 v34, 0xd47, v34
	v_sub_nc_u32_e32 v35, v33, v35
	s_delay_alu instid0(VALU_DEP_2) | instskip(SKIP_1) | instid1(VALU_DEP_3)
	v_xor_b32_e32 v36, 0x7fffffff, v34
	v_add_nc_u32_e32 v33, -1, v33
	v_mul_lo_u32 v35, 0xbc8f, v35
	v_sub_nc_u32_e32 v37, 0, v34
	s_delay_alu instid0(VALU_DEP_2) | instskip(NEXT) | instid1(VALU_DEP_2)
	v_cmp_lt_u32_e32 vcc_lo, v35, v34
	v_cndmask_b32_e32 v34, v37, v36, vcc_lo
	s_delay_alu instid0(VALU_DEP_1) | instskip(NEXT) | instid1(VALU_DEP_1)
	v_add_nc_u32_e32 v35, v34, v35
	v_mul_hi_u32 v34, 0xbc8f1391, v35
	s_delay_alu instid0(VALU_DEP_1) | instskip(NEXT) | instid1(VALU_DEP_1)
	v_lshrrev_b32_e32 v34, 15, v34
	v_mul_u32_u24_e32 v36, 0xadc8, v34
	v_mul_u32_u24_e32 v34, 0xd47, v34
	s_delay_alu instid0(VALU_DEP_2) | instskip(NEXT) | instid1(VALU_DEP_2)
	v_sub_nc_u32_e32 v36, v35, v36
	v_xor_b32_e32 v37, 0x7fffffff, v34
	s_delay_alu instid0(VALU_DEP_2) | instskip(SKIP_1) | instid1(VALU_DEP_2)
	v_mul_lo_u32 v36, 0xbc8f, v36
	v_sub_nc_u32_e32 v38, 0, v34
	v_cmp_lt_u32_e32 vcc_lo, v36, v34
	s_delay_alu instid0(VALU_DEP_2) | instskip(NEXT) | instid1(VALU_DEP_1)
	v_dual_cndmask_b32 v34, v38, v37, vcc_lo :: v_dual_add_f32 v38, 1.0, v27
	v_add_nc_u32_e32 v36, v34, v36
	s_delay_alu instid0(VALU_DEP_1) | instskip(NEXT) | instid1(VALU_DEP_1)
	v_mul_hi_u32 v34, 0xbc8f1391, v36
	v_lshrrev_b32_e32 v34, 15, v34
	s_delay_alu instid0(VALU_DEP_1) | instskip(SKIP_2) | instid1(VALU_DEP_3)
	v_mul_u32_u24_e32 v37, 0xadc8, v34
	v_mul_u32_u24_e32 v39, 0xd47, v34
	v_cvt_f32_u32_e32 v34, v33
	v_sub_nc_u32_e32 v37, v36, v37
	s_delay_alu instid0(VALU_DEP_3) | instskip(SKIP_1) | instid1(VALU_DEP_3)
	v_xor_b32_e32 v33, 0x7fffffff, v39
	v_dual_sub_nc_u32 v40, 0, v39 :: v_dual_add_nc_u32 v36, -1, v36
	v_mul_lo_u32 v37, 0xbc8f, v37
	s_delay_alu instid0(VALU_DEP_2) | instskip(NEXT) | instid1(VALU_DEP_2)
	v_cvt_f32_u32_e32 v36, v36
	v_cmp_lt_u32_e32 vcc_lo, v37, v39
	s_delay_alu instid0(VALU_DEP_4) | instskip(NEXT) | instid1(VALU_DEP_1)
	v_dual_add_nc_u32 v35, -1, v35 :: v_dual_cndmask_b32 v33, v40, v33, vcc_lo
	v_cvt_f32_u32_e32 v35, v35
	s_delay_alu instid0(VALU_DEP_2) | instskip(NEXT) | instid1(VALU_DEP_2)
	v_add_nc_u32_e32 v33, v33, v37
	v_pk_fma_f32 v[34:35], v[34:35], s[34:35], 0 op_sel_hi:[1,0,0]
	s_delay_alu instid0(VALU_DEP_1) | instskip(NEXT) | instid1(VALU_DEP_1)
	v_pk_mul_f32 v[34:35], v[34:35], v[34:35]
	v_dual_add_nc_u32 v37, -1, v33 :: v_dual_add_f32 v39, v34, v35
	s_delay_alu instid0(VALU_DEP_1) | instskip(NEXT) | instid1(VALU_DEP_2)
	v_cvt_f32_u32_e32 v37, v37
	v_cmp_gt_f32_e32 vcc_lo, 0xf800000, v39
	s_delay_alu instid0(VALU_DEP_2) | instskip(NEXT) | instid1(VALU_DEP_1)
	v_pk_fma_f32 v[34:35], v[36:37], s[34:35], 0 op_sel_hi:[1,0,0]
	v_pk_mul_f32 v[34:35], v[34:35], v[34:35]
	s_delay_alu instid0(VALU_DEP_1) | instskip(NEXT) | instid1(VALU_DEP_1)
	v_add_f32_e32 v34, v34, v35
	v_dual_mul_f32 v36, 0x4f800000, v39 :: v_dual_mul_f32 v37, 0x4f800000, v34
	s_delay_alu instid0(VALU_DEP_1) | instskip(SKIP_1) | instid1(VALU_DEP_2)
	v_cndmask_b32_e32 v36, v39, v36, vcc_lo
	v_cmp_gt_f32_e64 s29, 0xf800000, v34
	v_sqrt_f32_e32 v35, v36
	v_nop
	s_delay_alu instid0(TRANS32_DEP_1) | instskip(NEXT) | instid1(VALU_DEP_1)
	v_dual_add_nc_u32 v39, -1, v35 :: v_dual_cndmask_b32 v34, v34, v37, s29
	v_dual_add_nc_u32 v37, 1, v35 :: v_dual_fma_f32 v40, -v39, v35, v36
	s_delay_alu instid0(VALU_DEP_2) | instskip(NEXT) | instid1(VALU_DEP_1)
	v_sqrt_f32_e32 v41, v34
	v_fma_f32 v42, -v37, v35, v36
	s_delay_alu instid0(VALU_DEP_2)
	v_cmp_ge_f32_e64 s30, 0, v40
	s_delay_alu instid0(TRANS32_DEP_1) | instid1(VALU_DEP_1)
	v_dual_cndmask_b32 v35, v35, v39, s30 :: v_dual_add_nc_u32 v39, -1, v41
	s_delay_alu instid0(VALU_DEP_3) | instskip(NEXT) | instid1(VALU_DEP_1)
	v_cmp_lt_f32_e64 s30, 0, v42
	v_cndmask_b32_e64 v35, v35, v37, s30
	s_delay_alu instid0(VALU_DEP_3) | instskip(NEXT) | instid1(VALU_DEP_1)
	v_dual_add_nc_u32 v37, 1, v41 :: v_dual_fma_f32 v40, -v39, v41, v34
	v_fma_f32 v43, -v37, v41, v34
	s_delay_alu instid0(VALU_DEP_2) | instskip(NEXT) | instid1(VALU_DEP_1)
	v_cmp_ge_f32_e64 s30, 0, v40
	v_cndmask_b32_e64 v39, v41, v39, s30
	v_mul_f32_e32 v42, 0x37800000, v35
	s_delay_alu instid0(VALU_DEP_4) | instskip(NEXT) | instid1(VALU_DEP_1)
	v_cmp_lt_f32_e64 s30, 0, v43
	v_cndmask_b32_e64 v37, v39, v37, s30
	s_delay_alu instid0(VALU_DEP_3) | instskip(SKIP_1) | instid1(VALU_DEP_2)
	v_cndmask_b32_e32 v35, v35, v42, vcc_lo
	v_cmp_class_f32_e64 vcc_lo, v36, 0x260
	v_cndmask_b32_e32 v35, v35, v36, vcc_lo
	s_delay_alu instid0(VALU_DEP_1) | instskip(SKIP_2) | instid1(VALU_DEP_2)
	v_cmp_nge_f32_e32 vcc_lo, 1.0, v35
	v_dual_cndmask_b32 v27, v38, v27 :: v_dual_mul_f32 v36, 0x37800000, v37
	v_cmp_class_f32_e64 vcc_lo, v34, 0x260
	v_dual_cndmask_b32 v35, v37, v36, s29 :: v_dual_add_f32 v36, 1.0, v27
	s_delay_alu instid0(VALU_DEP_1) | instskip(NEXT) | instid1(VALU_DEP_1)
	v_cndmask_b32_e32 v34, v35, v34, vcc_lo
	v_cmp_nge_f32_e32 vcc_lo, 1.0, v34
	s_delay_alu instid0(VALU_DEP_3)
	v_cndmask_b32_e32 v27, v36, v27, vcc_lo
	s_cbranch_scc1 .LBB27_230
; %bb.231:
	s_delay_alu instid0(VALU_DEP_1) | instskip(NEXT) | instid1(VALU_DEP_1)
	v_mul_f32_e32 v27, 4.0, v27
	v_div_scale_f32 v33, null, 0x461c4000, 0x461c4000, v27
	s_delay_alu instid0(VALU_DEP_1) | instskip(SKIP_1) | instid1(TRANS32_DEP_1)
	v_rcp_f32_e32 v34, v33
	v_nop
	v_fma_f32 v35, -v33, v34, 1.0
	s_delay_alu instid0(VALU_DEP_1) | instskip(SKIP_1) | instid1(VALU_DEP_1)
	v_fmac_f32_e32 v34, v35, v34
	v_div_scale_f32 v35, vcc_lo, v27, 0x461c4000, v27
	v_mul_f32_e32 v36, v35, v34
	s_delay_alu instid0(VALU_DEP_1) | instskip(NEXT) | instid1(VALU_DEP_1)
	v_fma_f32 v37, -v33, v36, v35
	v_fmac_f32_e32 v36, v37, v34
	s_delay_alu instid0(VALU_DEP_1) | instskip(NEXT) | instid1(VALU_DEP_1)
	v_fma_f32 v33, -v33, v36, v35
	v_div_fmas_f32 v33, v33, v34, v36
	s_delay_alu instid0(VALU_DEP_1)
	v_div_fixup_f32 v27, v33, 0x461c4000, v27
.LBB27_232:
	s_or_b32 exec_lo, exec_lo, s31
	v_or_b32_e32 v33, 0x1c00, v0
	s_delay_alu instid0(VALU_DEP_1)
	v_cmp_gt_u32_e64 s29, s46, v33
	s_and_saveexec_b32 s33, s29
	s_cbranch_execz .LBB27_236
; %bb.233:
	v_add_nc_u32_e32 v30, s35, v33
	s_movk_i32 s44, 0x2710
	s_brev_b32 s34, 12
	s_delay_alu instid0(VALU_DEP_1) | instskip(NEXT) | instid1(VALU_DEP_1)
	v_lshlrev_b32_e32 v33, 12, v30
	v_add3_u32 v30, v30, v33, 0x7ed55d16
	s_delay_alu instid0(VALU_DEP_1) | instskip(NEXT) | instid1(VALU_DEP_1)
	v_lshrrev_b32_e32 v33, 19, v30
	v_xor3_b32 v30, v30, v33, 0xc761c23c
	s_delay_alu instid0(VALU_DEP_1) | instskip(NEXT) | instid1(VALU_DEP_1)
	v_lshl_add_u32 v30, v30, 5, v30
	v_add_nc_u32_e32 v33, 0xe9f8cc1d, v30
	v_lshl_add_u32 v30, v30, 9, 0xaccf6200
	s_delay_alu instid0(VALU_DEP_1) | instskip(NEXT) | instid1(VALU_DEP_1)
	v_xor_b32_e32 v30, v33, v30
	v_lshlrev_b32_e32 v33, 3, v30
	s_delay_alu instid0(VALU_DEP_1) | instskip(NEXT) | instid1(VALU_DEP_1)
	v_add3_u32 v30, v30, v33, 0xfd7046c5
	v_lshrrev_b32_e32 v33, 16, v30
	s_delay_alu instid0(VALU_DEP_1) | instskip(NEXT) | instid1(VALU_DEP_1)
	v_xor3_b32 v30, v30, v33, 0xb55a4f09
	v_mul_hi_u32 v33, v30, 3
	s_delay_alu instid0(VALU_DEP_1) | instskip(NEXT) | instid1(VALU_DEP_1)
	v_sub_nc_u32_e32 v34, v30, v33
	v_lshrrev_b32_e32 v34, 1, v34
	s_delay_alu instid0(VALU_DEP_1) | instskip(NEXT) | instid1(VALU_DEP_1)
	v_add_nc_u32_e32 v33, v34, v33
	v_lshrrev_b32_e32 v33, 30, v33
	s_delay_alu instid0(VALU_DEP_1) | instskip(NEXT) | instid1(VALU_DEP_1)
	v_mul_lo_u32 v33, 0x7fffffff, v33
	v_sub_nc_u32_e32 v30, v30, v33
	s_delay_alu instid0(VALU_DEP_1)
	v_max_u32_e32 v33, 1, v30
	v_mov_b32_e32 v30, 0
.LBB27_234:                             ; =>This Inner Loop Header: Depth=1
	s_delay_alu instid0(VALU_DEP_2) | instskip(SKIP_1) | instid1(SALU_CYCLE_1)
	v_mul_hi_u32 v34, 0xbc8f1391, v33
	s_add_co_i32 s44, s44, -2
	s_cmp_lg_u32 s44, 0
	s_delay_alu instid0(VALU_DEP_1) | instskip(NEXT) | instid1(VALU_DEP_1)
	v_lshrrev_b32_e32 v34, 15, v34
	v_mul_u32_u24_e32 v35, 0xadc8, v34
	s_delay_alu instid0(VALU_DEP_1) | instskip(SKIP_1) | instid1(VALU_DEP_2)
	v_sub_nc_u32_e32 v33, v33, v35
	v_mul_u32_u24_e32 v34, 0xd47, v34
	v_mul_lo_u32 v33, 0xbc8f, v33
	s_delay_alu instid0(VALU_DEP_2) | instskip(SKIP_1) | instid1(VALU_DEP_3)
	v_xor_b32_e32 v35, 0x7fffffff, v34
	v_sub_nc_u32_e32 v36, 0, v34
	v_cmp_lt_u32_e32 vcc_lo, v33, v34
	s_delay_alu instid0(VALU_DEP_2) | instskip(NEXT) | instid1(VALU_DEP_1)
	v_cndmask_b32_e32 v34, v36, v35, vcc_lo
	v_add_nc_u32_e32 v33, v34, v33
	s_delay_alu instid0(VALU_DEP_1) | instskip(NEXT) | instid1(VALU_DEP_1)
	v_mul_hi_u32 v34, 0xbc8f1391, v33
	v_lshrrev_b32_e32 v34, 15, v34
	s_delay_alu instid0(VALU_DEP_1) | instskip(SKIP_1) | instid1(VALU_DEP_2)
	v_mul_u32_u24_e32 v35, 0xadc8, v34
	v_mul_u32_u24_e32 v34, 0xd47, v34
	v_sub_nc_u32_e32 v35, v33, v35
	s_delay_alu instid0(VALU_DEP_2) | instskip(SKIP_1) | instid1(VALU_DEP_3)
	v_xor_b32_e32 v36, 0x7fffffff, v34
	v_add_nc_u32_e32 v33, -1, v33
	v_mul_lo_u32 v35, 0xbc8f, v35
	v_sub_nc_u32_e32 v37, 0, v34
	s_delay_alu instid0(VALU_DEP_2) | instskip(NEXT) | instid1(VALU_DEP_2)
	v_cmp_lt_u32_e32 vcc_lo, v35, v34
	v_cndmask_b32_e32 v34, v37, v36, vcc_lo
	s_delay_alu instid0(VALU_DEP_1) | instskip(NEXT) | instid1(VALU_DEP_1)
	v_add_nc_u32_e32 v35, v34, v35
	v_mul_hi_u32 v34, 0xbc8f1391, v35
	s_delay_alu instid0(VALU_DEP_1) | instskip(NEXT) | instid1(VALU_DEP_1)
	v_lshrrev_b32_e32 v34, 15, v34
	v_mul_u32_u24_e32 v36, 0xadc8, v34
	v_mul_u32_u24_e32 v34, 0xd47, v34
	s_delay_alu instid0(VALU_DEP_2) | instskip(NEXT) | instid1(VALU_DEP_2)
	v_sub_nc_u32_e32 v36, v35, v36
	v_xor_b32_e32 v37, 0x7fffffff, v34
	s_delay_alu instid0(VALU_DEP_2) | instskip(SKIP_1) | instid1(VALU_DEP_2)
	v_mul_lo_u32 v36, 0xbc8f, v36
	v_sub_nc_u32_e32 v38, 0, v34
	v_cmp_lt_u32_e32 vcc_lo, v36, v34
	s_delay_alu instid0(VALU_DEP_2) | instskip(NEXT) | instid1(VALU_DEP_1)
	v_dual_cndmask_b32 v34, v38, v37, vcc_lo :: v_dual_add_f32 v38, 1.0, v30
	v_add_nc_u32_e32 v36, v34, v36
	s_delay_alu instid0(VALU_DEP_1) | instskip(NEXT) | instid1(VALU_DEP_1)
	v_mul_hi_u32 v34, 0xbc8f1391, v36
	v_lshrrev_b32_e32 v34, 15, v34
	s_delay_alu instid0(VALU_DEP_1) | instskip(SKIP_2) | instid1(VALU_DEP_3)
	v_mul_u32_u24_e32 v37, 0xadc8, v34
	v_mul_u32_u24_e32 v39, 0xd47, v34
	v_cvt_f32_u32_e32 v34, v33
	v_sub_nc_u32_e32 v37, v36, v37
	s_delay_alu instid0(VALU_DEP_3) | instskip(SKIP_1) | instid1(VALU_DEP_3)
	v_xor_b32_e32 v33, 0x7fffffff, v39
	v_dual_sub_nc_u32 v40, 0, v39 :: v_dual_add_nc_u32 v36, -1, v36
	v_mul_lo_u32 v37, 0xbc8f, v37
	s_delay_alu instid0(VALU_DEP_2) | instskip(NEXT) | instid1(VALU_DEP_2)
	v_cvt_f32_u32_e32 v36, v36
	v_cmp_lt_u32_e32 vcc_lo, v37, v39
	s_delay_alu instid0(VALU_DEP_4) | instskip(NEXT) | instid1(VALU_DEP_1)
	v_dual_add_nc_u32 v35, -1, v35 :: v_dual_cndmask_b32 v33, v40, v33, vcc_lo
	v_cvt_f32_u32_e32 v35, v35
	s_delay_alu instid0(VALU_DEP_2) | instskip(NEXT) | instid1(VALU_DEP_2)
	v_add_nc_u32_e32 v33, v33, v37
	v_pk_fma_f32 v[34:35], v[34:35], s[34:35], 0 op_sel_hi:[1,0,0]
	s_delay_alu instid0(VALU_DEP_1) | instskip(NEXT) | instid1(VALU_DEP_1)
	v_pk_mul_f32 v[34:35], v[34:35], v[34:35]
	v_dual_add_nc_u32 v37, -1, v33 :: v_dual_add_f32 v39, v34, v35
	s_delay_alu instid0(VALU_DEP_1) | instskip(NEXT) | instid1(VALU_DEP_2)
	v_cvt_f32_u32_e32 v37, v37
	v_cmp_gt_f32_e32 vcc_lo, 0xf800000, v39
	s_delay_alu instid0(VALU_DEP_2) | instskip(NEXT) | instid1(VALU_DEP_1)
	v_pk_fma_f32 v[34:35], v[36:37], s[34:35], 0 op_sel_hi:[1,0,0]
	v_pk_mul_f32 v[34:35], v[34:35], v[34:35]
	s_delay_alu instid0(VALU_DEP_1) | instskip(NEXT) | instid1(VALU_DEP_1)
	v_add_f32_e32 v34, v34, v35
	v_dual_mul_f32 v36, 0x4f800000, v39 :: v_dual_mul_f32 v37, 0x4f800000, v34
	s_delay_alu instid0(VALU_DEP_1) | instskip(SKIP_1) | instid1(VALU_DEP_2)
	v_cndmask_b32_e32 v36, v39, v36, vcc_lo
	v_cmp_gt_f32_e64 s30, 0xf800000, v34
	v_sqrt_f32_e32 v35, v36
	v_nop
	s_delay_alu instid0(TRANS32_DEP_1) | instskip(NEXT) | instid1(VALU_DEP_1)
	v_dual_add_nc_u32 v39, -1, v35 :: v_dual_cndmask_b32 v34, v34, v37, s30
	v_dual_add_nc_u32 v37, 1, v35 :: v_dual_fma_f32 v40, -v39, v35, v36
	s_delay_alu instid0(VALU_DEP_2) | instskip(NEXT) | instid1(VALU_DEP_1)
	v_sqrt_f32_e32 v41, v34
	v_fma_f32 v42, -v37, v35, v36
	s_delay_alu instid0(VALU_DEP_2)
	v_cmp_ge_f32_e64 s31, 0, v40
	s_delay_alu instid0(TRANS32_DEP_1) | instid1(VALU_DEP_1)
	v_dual_cndmask_b32 v35, v35, v39, s31 :: v_dual_add_nc_u32 v39, -1, v41
	s_delay_alu instid0(VALU_DEP_3) | instskip(NEXT) | instid1(VALU_DEP_1)
	v_cmp_lt_f32_e64 s31, 0, v42
	v_cndmask_b32_e64 v35, v35, v37, s31
	s_delay_alu instid0(VALU_DEP_3) | instskip(NEXT) | instid1(VALU_DEP_1)
	v_dual_add_nc_u32 v37, 1, v41 :: v_dual_fma_f32 v40, -v39, v41, v34
	v_fma_f32 v43, -v37, v41, v34
	s_delay_alu instid0(VALU_DEP_2) | instskip(NEXT) | instid1(VALU_DEP_1)
	v_cmp_ge_f32_e64 s31, 0, v40
	v_cndmask_b32_e64 v39, v41, v39, s31
	v_mul_f32_e32 v42, 0x37800000, v35
	s_delay_alu instid0(VALU_DEP_4) | instskip(NEXT) | instid1(VALU_DEP_1)
	v_cmp_lt_f32_e64 s31, 0, v43
	v_cndmask_b32_e64 v37, v39, v37, s31
	s_delay_alu instid0(VALU_DEP_3) | instskip(SKIP_1) | instid1(VALU_DEP_2)
	v_cndmask_b32_e32 v35, v35, v42, vcc_lo
	v_cmp_class_f32_e64 vcc_lo, v36, 0x260
	v_cndmask_b32_e32 v35, v35, v36, vcc_lo
	s_delay_alu instid0(VALU_DEP_1) | instskip(SKIP_3) | instid1(VALU_DEP_2)
	v_cmp_nge_f32_e32 vcc_lo, 1.0, v35
	v_cndmask_b32_e32 v30, v38, v30, vcc_lo
	v_mul_f32_e32 v36, 0x37800000, v37
	v_cmp_class_f32_e64 vcc_lo, v34, 0x260
	v_dual_cndmask_b32 v35, v37, v36, s30 :: v_dual_add_f32 v36, 1.0, v30
	s_delay_alu instid0(VALU_DEP_1) | instskip(NEXT) | instid1(VALU_DEP_1)
	v_cndmask_b32_e32 v34, v35, v34, vcc_lo
	v_cmp_nge_f32_e32 vcc_lo, 1.0, v34
	s_delay_alu instid0(VALU_DEP_3)
	v_cndmask_b32_e32 v30, v36, v30, vcc_lo
	s_cbranch_scc1 .LBB27_234
; %bb.235:
	s_delay_alu instid0(VALU_DEP_1) | instskip(NEXT) | instid1(VALU_DEP_1)
	v_mul_f32_e32 v30, 4.0, v30
	v_div_scale_f32 v33, null, 0x461c4000, 0x461c4000, v30
	s_delay_alu instid0(VALU_DEP_1) | instskip(SKIP_1) | instid1(TRANS32_DEP_1)
	v_rcp_f32_e32 v34, v33
	v_nop
	v_fma_f32 v35, -v33, v34, 1.0
	s_delay_alu instid0(VALU_DEP_1) | instskip(SKIP_1) | instid1(VALU_DEP_1)
	v_fmac_f32_e32 v34, v35, v34
	v_div_scale_f32 v35, vcc_lo, v30, 0x461c4000, v30
	v_mul_f32_e32 v36, v35, v34
	s_delay_alu instid0(VALU_DEP_1) | instskip(NEXT) | instid1(VALU_DEP_1)
	v_fma_f32 v37, -v33, v36, v35
	v_fmac_f32_e32 v36, v37, v34
	s_delay_alu instid0(VALU_DEP_1) | instskip(NEXT) | instid1(VALU_DEP_1)
	v_fma_f32 v33, -v33, v36, v35
	v_div_fmas_f32 v33, v33, v34, v36
	s_delay_alu instid0(VALU_DEP_1)
	v_div_fixup_f32 v30, v33, 0x461c4000, v30
.LBB27_236:
	s_or_b32 exec_lo, exec_lo, s33
	v_or_b32_e32 v33, 0x1d00, v0
	s_delay_alu instid0(VALU_DEP_1)
	v_cmp_gt_u32_e64 s30, s46, v33
	s_and_saveexec_b32 s44, s30
	s_cbranch_execz .LBB27_240
; %bb.237:
	v_add_nc_u32_e32 v29, s35, v33
	s_movk_i32 s47, 0x2710
	s_brev_b32 s34, 12
	s_delay_alu instid0(VALU_DEP_1) | instskip(NEXT) | instid1(VALU_DEP_1)
	v_lshlrev_b32_e32 v33, 12, v29
	v_add3_u32 v29, v29, v33, 0x7ed55d16
	s_delay_alu instid0(VALU_DEP_1) | instskip(NEXT) | instid1(VALU_DEP_1)
	v_lshrrev_b32_e32 v33, 19, v29
	v_xor3_b32 v29, v29, v33, 0xc761c23c
	s_delay_alu instid0(VALU_DEP_1) | instskip(NEXT) | instid1(VALU_DEP_1)
	v_lshl_add_u32 v29, v29, 5, v29
	v_add_nc_u32_e32 v33, 0xe9f8cc1d, v29
	v_lshl_add_u32 v29, v29, 9, 0xaccf6200
	s_delay_alu instid0(VALU_DEP_1) | instskip(NEXT) | instid1(VALU_DEP_1)
	v_xor_b32_e32 v29, v33, v29
	v_lshlrev_b32_e32 v33, 3, v29
	s_delay_alu instid0(VALU_DEP_1) | instskip(NEXT) | instid1(VALU_DEP_1)
	v_add3_u32 v29, v29, v33, 0xfd7046c5
	v_lshrrev_b32_e32 v33, 16, v29
	s_delay_alu instid0(VALU_DEP_1) | instskip(NEXT) | instid1(VALU_DEP_1)
	v_xor3_b32 v29, v29, v33, 0xb55a4f09
	v_mul_hi_u32 v33, v29, 3
	s_delay_alu instid0(VALU_DEP_1) | instskip(NEXT) | instid1(VALU_DEP_1)
	v_sub_nc_u32_e32 v34, v29, v33
	v_lshrrev_b32_e32 v34, 1, v34
	s_delay_alu instid0(VALU_DEP_1) | instskip(NEXT) | instid1(VALU_DEP_1)
	v_add_nc_u32_e32 v33, v34, v33
	v_lshrrev_b32_e32 v33, 30, v33
	s_delay_alu instid0(VALU_DEP_1) | instskip(NEXT) | instid1(VALU_DEP_1)
	v_mul_lo_u32 v33, 0x7fffffff, v33
	v_sub_nc_u32_e32 v29, v29, v33
	s_delay_alu instid0(VALU_DEP_1)
	v_max_u32_e32 v33, 1, v29
	v_mov_b32_e32 v29, 0
.LBB27_238:                             ; =>This Inner Loop Header: Depth=1
	s_delay_alu instid0(VALU_DEP_2) | instskip(SKIP_1) | instid1(SALU_CYCLE_1)
	v_mul_hi_u32 v34, 0xbc8f1391, v33
	s_add_co_i32 s47, s47, -2
	s_cmp_lg_u32 s47, 0
	s_delay_alu instid0(VALU_DEP_1) | instskip(NEXT) | instid1(VALU_DEP_1)
	v_lshrrev_b32_e32 v34, 15, v34
	v_mul_u32_u24_e32 v35, 0xadc8, v34
	s_delay_alu instid0(VALU_DEP_1) | instskip(SKIP_1) | instid1(VALU_DEP_2)
	v_sub_nc_u32_e32 v33, v33, v35
	v_mul_u32_u24_e32 v34, 0xd47, v34
	v_mul_lo_u32 v33, 0xbc8f, v33
	s_delay_alu instid0(VALU_DEP_2) | instskip(SKIP_1) | instid1(VALU_DEP_3)
	v_xor_b32_e32 v35, 0x7fffffff, v34
	v_sub_nc_u32_e32 v36, 0, v34
	v_cmp_lt_u32_e32 vcc_lo, v33, v34
	s_delay_alu instid0(VALU_DEP_2) | instskip(NEXT) | instid1(VALU_DEP_1)
	v_cndmask_b32_e32 v34, v36, v35, vcc_lo
	v_add_nc_u32_e32 v33, v34, v33
	s_delay_alu instid0(VALU_DEP_1) | instskip(NEXT) | instid1(VALU_DEP_1)
	v_mul_hi_u32 v34, 0xbc8f1391, v33
	v_lshrrev_b32_e32 v34, 15, v34
	s_delay_alu instid0(VALU_DEP_1) | instskip(SKIP_1) | instid1(VALU_DEP_2)
	v_mul_u32_u24_e32 v35, 0xadc8, v34
	v_mul_u32_u24_e32 v34, 0xd47, v34
	v_sub_nc_u32_e32 v35, v33, v35
	s_delay_alu instid0(VALU_DEP_2) | instskip(SKIP_1) | instid1(VALU_DEP_3)
	v_xor_b32_e32 v36, 0x7fffffff, v34
	v_add_nc_u32_e32 v33, -1, v33
	v_mul_lo_u32 v35, 0xbc8f, v35
	v_sub_nc_u32_e32 v37, 0, v34
	s_delay_alu instid0(VALU_DEP_2) | instskip(NEXT) | instid1(VALU_DEP_2)
	v_cmp_lt_u32_e32 vcc_lo, v35, v34
	v_cndmask_b32_e32 v34, v37, v36, vcc_lo
	s_delay_alu instid0(VALU_DEP_1) | instskip(NEXT) | instid1(VALU_DEP_1)
	v_add_nc_u32_e32 v35, v34, v35
	v_mul_hi_u32 v34, 0xbc8f1391, v35
	s_delay_alu instid0(VALU_DEP_1) | instskip(NEXT) | instid1(VALU_DEP_1)
	v_lshrrev_b32_e32 v34, 15, v34
	v_mul_u32_u24_e32 v36, 0xadc8, v34
	v_mul_u32_u24_e32 v34, 0xd47, v34
	s_delay_alu instid0(VALU_DEP_2) | instskip(NEXT) | instid1(VALU_DEP_2)
	v_sub_nc_u32_e32 v36, v35, v36
	v_xor_b32_e32 v37, 0x7fffffff, v34
	s_delay_alu instid0(VALU_DEP_2) | instskip(SKIP_1) | instid1(VALU_DEP_2)
	v_mul_lo_u32 v36, 0xbc8f, v36
	v_sub_nc_u32_e32 v38, 0, v34
	v_cmp_lt_u32_e32 vcc_lo, v36, v34
	s_delay_alu instid0(VALU_DEP_2) | instskip(NEXT) | instid1(VALU_DEP_1)
	v_cndmask_b32_e32 v34, v38, v37, vcc_lo
	v_dual_add_f32 v38, 1.0, v29 :: v_dual_add_nc_u32 v36, v34, v36
	s_delay_alu instid0(VALU_DEP_1) | instskip(NEXT) | instid1(VALU_DEP_1)
	v_mul_hi_u32 v34, 0xbc8f1391, v36
	v_lshrrev_b32_e32 v34, 15, v34
	s_delay_alu instid0(VALU_DEP_1) | instskip(SKIP_2) | instid1(VALU_DEP_3)
	v_mul_u32_u24_e32 v37, 0xadc8, v34
	v_mul_u32_u24_e32 v39, 0xd47, v34
	v_cvt_f32_u32_e32 v34, v33
	v_sub_nc_u32_e32 v37, v36, v37
	s_delay_alu instid0(VALU_DEP_3) | instskip(SKIP_1) | instid1(VALU_DEP_3)
	v_xor_b32_e32 v33, 0x7fffffff, v39
	v_dual_sub_nc_u32 v40, 0, v39 :: v_dual_add_nc_u32 v36, -1, v36
	v_mul_lo_u32 v37, 0xbc8f, v37
	s_delay_alu instid0(VALU_DEP_2) | instskip(NEXT) | instid1(VALU_DEP_2)
	v_cvt_f32_u32_e32 v36, v36
	v_cmp_lt_u32_e32 vcc_lo, v37, v39
	s_delay_alu instid0(VALU_DEP_4) | instskip(NEXT) | instid1(VALU_DEP_1)
	v_dual_add_nc_u32 v35, -1, v35 :: v_dual_cndmask_b32 v33, v40, v33, vcc_lo
	v_cvt_f32_u32_e32 v35, v35
	s_delay_alu instid0(VALU_DEP_2) | instskip(NEXT) | instid1(VALU_DEP_2)
	v_add_nc_u32_e32 v33, v33, v37
	v_pk_fma_f32 v[34:35], v[34:35], s[34:35], 0 op_sel_hi:[1,0,0]
	s_delay_alu instid0(VALU_DEP_1) | instskip(NEXT) | instid1(VALU_DEP_1)
	v_pk_mul_f32 v[34:35], v[34:35], v[34:35]
	v_dual_add_nc_u32 v37, -1, v33 :: v_dual_add_f32 v39, v34, v35
	s_delay_alu instid0(VALU_DEP_1) | instskip(NEXT) | instid1(VALU_DEP_2)
	v_cvt_f32_u32_e32 v37, v37
	v_cmp_gt_f32_e32 vcc_lo, 0xf800000, v39
	s_delay_alu instid0(VALU_DEP_2) | instskip(NEXT) | instid1(VALU_DEP_1)
	v_pk_fma_f32 v[34:35], v[36:37], s[34:35], 0 op_sel_hi:[1,0,0]
	v_pk_mul_f32 v[34:35], v[34:35], v[34:35]
	s_delay_alu instid0(VALU_DEP_1) | instskip(NEXT) | instid1(VALU_DEP_1)
	v_add_f32_e32 v34, v34, v35
	v_dual_mul_f32 v36, 0x4f800000, v39 :: v_dual_mul_f32 v37, 0x4f800000, v34
	s_delay_alu instid0(VALU_DEP_1) | instskip(SKIP_1) | instid1(VALU_DEP_2)
	v_cndmask_b32_e32 v36, v39, v36, vcc_lo
	v_cmp_gt_f32_e64 s31, 0xf800000, v34
	v_sqrt_f32_e32 v35, v36
	v_nop
	s_delay_alu instid0(TRANS32_DEP_1) | instskip(NEXT) | instid1(VALU_DEP_1)
	v_dual_add_nc_u32 v39, -1, v35 :: v_dual_cndmask_b32 v34, v34, v37, s31
	v_dual_add_nc_u32 v37, 1, v35 :: v_dual_fma_f32 v40, -v39, v35, v36
	s_delay_alu instid0(VALU_DEP_2) | instskip(NEXT) | instid1(VALU_DEP_1)
	v_sqrt_f32_e32 v41, v34
	v_fma_f32 v42, -v37, v35, v36
	s_delay_alu instid0(VALU_DEP_2)
	v_cmp_ge_f32_e64 s33, 0, v40
	s_delay_alu instid0(TRANS32_DEP_1) | instid1(VALU_DEP_1)
	v_dual_cndmask_b32 v35, v35, v39, s33 :: v_dual_add_nc_u32 v39, -1, v41
	s_delay_alu instid0(VALU_DEP_3) | instskip(NEXT) | instid1(VALU_DEP_1)
	v_cmp_lt_f32_e64 s33, 0, v42
	v_cndmask_b32_e64 v35, v35, v37, s33
	s_delay_alu instid0(VALU_DEP_3) | instskip(NEXT) | instid1(VALU_DEP_1)
	v_dual_add_nc_u32 v37, 1, v41 :: v_dual_fma_f32 v40, -v39, v41, v34
	v_fma_f32 v43, -v37, v41, v34
	s_delay_alu instid0(VALU_DEP_2) | instskip(NEXT) | instid1(VALU_DEP_1)
	v_cmp_ge_f32_e64 s33, 0, v40
	v_cndmask_b32_e64 v39, v41, v39, s33
	v_mul_f32_e32 v42, 0x37800000, v35
	s_delay_alu instid0(VALU_DEP_4) | instskip(NEXT) | instid1(VALU_DEP_1)
	v_cmp_lt_f32_e64 s33, 0, v43
	v_cndmask_b32_e64 v37, v39, v37, s33
	s_delay_alu instid0(VALU_DEP_3) | instskip(SKIP_1) | instid1(VALU_DEP_2)
	v_cndmask_b32_e32 v35, v35, v42, vcc_lo
	v_cmp_class_f32_e64 vcc_lo, v36, 0x260
	v_dual_cndmask_b32 v35, v35, v36 :: v_dual_mul_f32 v36, 0x37800000, v37
	s_delay_alu instid0(VALU_DEP_1) | instskip(NEXT) | instid1(VALU_DEP_2)
	v_cmp_nge_f32_e32 vcc_lo, 1.0, v35
	v_dual_cndmask_b32 v35, v37, v36, s31 :: v_dual_cndmask_b32 v29, v38, v29, vcc_lo
	v_cmp_class_f32_e64 vcc_lo, v34, 0x260
	s_delay_alu instid0(VALU_DEP_1) | instskip(NEXT) | instid1(VALU_DEP_1)
	v_dual_add_f32 v36, 1.0, v29 :: v_dual_cndmask_b32 v34, v35, v34, vcc_lo
	v_cmp_nge_f32_e32 vcc_lo, 1.0, v34
	s_delay_alu instid0(VALU_DEP_2)
	v_cndmask_b32_e32 v29, v36, v29, vcc_lo
	s_cbranch_scc1 .LBB27_238
; %bb.239:
	s_delay_alu instid0(VALU_DEP_1) | instskip(NEXT) | instid1(VALU_DEP_1)
	v_mul_f32_e32 v29, 4.0, v29
	v_div_scale_f32 v33, null, 0x461c4000, 0x461c4000, v29
	s_delay_alu instid0(VALU_DEP_1) | instskip(SKIP_1) | instid1(TRANS32_DEP_1)
	v_rcp_f32_e32 v34, v33
	v_nop
	v_fma_f32 v35, -v33, v34, 1.0
	s_delay_alu instid0(VALU_DEP_1) | instskip(SKIP_1) | instid1(VALU_DEP_1)
	v_fmac_f32_e32 v34, v35, v34
	v_div_scale_f32 v35, vcc_lo, v29, 0x461c4000, v29
	v_mul_f32_e32 v36, v35, v34
	s_delay_alu instid0(VALU_DEP_1) | instskip(NEXT) | instid1(VALU_DEP_1)
	v_fma_f32 v37, -v33, v36, v35
	v_fmac_f32_e32 v36, v37, v34
	s_delay_alu instid0(VALU_DEP_1) | instskip(NEXT) | instid1(VALU_DEP_1)
	v_fma_f32 v33, -v33, v36, v35
	v_div_fmas_f32 v33, v33, v34, v36
	s_delay_alu instid0(VALU_DEP_1)
	v_div_fixup_f32 v29, v33, 0x461c4000, v29
.LBB27_240:
	s_or_b32 exec_lo, exec_lo, s44
	v_or_b32_e32 v33, 0x1e00, v0
	s_delay_alu instid0(VALU_DEP_1)
	v_cmp_gt_u32_e64 s31, s46, v33
	s_and_saveexec_b32 s47, s31
	s_cbranch_execz .LBB27_244
; %bb.241:
	v_add_nc_u32_e32 v32, s35, v33
	s_movk_i32 s48, 0x2710
	s_brev_b32 s44, 12
	s_delay_alu instid0(VALU_DEP_1) | instskip(NEXT) | instid1(VALU_DEP_1)
	v_lshlrev_b32_e32 v33, 12, v32
	v_add3_u32 v32, v32, v33, 0x7ed55d16
	s_delay_alu instid0(VALU_DEP_1) | instskip(NEXT) | instid1(VALU_DEP_1)
	v_lshrrev_b32_e32 v33, 19, v32
	v_xor3_b32 v32, v32, v33, 0xc761c23c
	s_delay_alu instid0(VALU_DEP_1) | instskip(NEXT) | instid1(VALU_DEP_1)
	v_lshl_add_u32 v32, v32, 5, v32
	v_add_nc_u32_e32 v33, 0xe9f8cc1d, v32
	v_lshl_add_u32 v32, v32, 9, 0xaccf6200
	s_delay_alu instid0(VALU_DEP_1) | instskip(NEXT) | instid1(VALU_DEP_1)
	v_xor_b32_e32 v32, v33, v32
	v_lshlrev_b32_e32 v33, 3, v32
	s_delay_alu instid0(VALU_DEP_1) | instskip(NEXT) | instid1(VALU_DEP_1)
	v_add3_u32 v32, v32, v33, 0xfd7046c5
	v_lshrrev_b32_e32 v33, 16, v32
	s_delay_alu instid0(VALU_DEP_1) | instskip(NEXT) | instid1(VALU_DEP_1)
	v_xor3_b32 v32, v32, v33, 0xb55a4f09
	v_mul_hi_u32 v33, v32, 3
	s_delay_alu instid0(VALU_DEP_1) | instskip(NEXT) | instid1(VALU_DEP_1)
	v_sub_nc_u32_e32 v34, v32, v33
	v_lshrrev_b32_e32 v34, 1, v34
	s_delay_alu instid0(VALU_DEP_1) | instskip(NEXT) | instid1(VALU_DEP_1)
	v_add_nc_u32_e32 v33, v34, v33
	v_lshrrev_b32_e32 v33, 30, v33
	s_delay_alu instid0(VALU_DEP_1) | instskip(NEXT) | instid1(VALU_DEP_1)
	v_mul_lo_u32 v33, 0x7fffffff, v33
	v_sub_nc_u32_e32 v32, v32, v33
	s_delay_alu instid0(VALU_DEP_1)
	v_max_u32_e32 v33, 1, v32
	v_mov_b32_e32 v32, 0
.LBB27_242:                             ; =>This Inner Loop Header: Depth=1
	s_delay_alu instid0(VALU_DEP_2) | instskip(SKIP_1) | instid1(SALU_CYCLE_1)
	v_mul_hi_u32 v34, 0xbc8f1391, v33
	s_add_co_i32 s48, s48, -2
	s_cmp_lg_u32 s48, 0
	s_delay_alu instid0(VALU_DEP_1) | instskip(NEXT) | instid1(VALU_DEP_1)
	v_lshrrev_b32_e32 v34, 15, v34
	v_mul_u32_u24_e32 v35, 0xadc8, v34
	s_delay_alu instid0(VALU_DEP_1) | instskip(SKIP_1) | instid1(VALU_DEP_2)
	v_sub_nc_u32_e32 v33, v33, v35
	v_mul_u32_u24_e32 v34, 0xd47, v34
	v_mul_lo_u32 v33, 0xbc8f, v33
	s_delay_alu instid0(VALU_DEP_2) | instskip(SKIP_1) | instid1(VALU_DEP_3)
	v_xor_b32_e32 v35, 0x7fffffff, v34
	v_sub_nc_u32_e32 v36, 0, v34
	v_cmp_lt_u32_e32 vcc_lo, v33, v34
	s_delay_alu instid0(VALU_DEP_2) | instskip(NEXT) | instid1(VALU_DEP_1)
	v_cndmask_b32_e32 v34, v36, v35, vcc_lo
	v_add_nc_u32_e32 v33, v34, v33
	s_delay_alu instid0(VALU_DEP_1) | instskip(NEXT) | instid1(VALU_DEP_1)
	v_mul_hi_u32 v34, 0xbc8f1391, v33
	v_lshrrev_b32_e32 v34, 15, v34
	s_delay_alu instid0(VALU_DEP_1) | instskip(SKIP_1) | instid1(VALU_DEP_2)
	v_mul_u32_u24_e32 v35, 0xadc8, v34
	v_mul_u32_u24_e32 v34, 0xd47, v34
	v_sub_nc_u32_e32 v35, v33, v35
	s_delay_alu instid0(VALU_DEP_2) | instskip(SKIP_1) | instid1(VALU_DEP_3)
	v_xor_b32_e32 v36, 0x7fffffff, v34
	v_add_nc_u32_e32 v33, -1, v33
	v_mul_lo_u32 v35, 0xbc8f, v35
	v_sub_nc_u32_e32 v37, 0, v34
	s_delay_alu instid0(VALU_DEP_2) | instskip(NEXT) | instid1(VALU_DEP_2)
	v_cmp_lt_u32_e32 vcc_lo, v35, v34
	v_cndmask_b32_e32 v34, v37, v36, vcc_lo
	s_delay_alu instid0(VALU_DEP_1) | instskip(NEXT) | instid1(VALU_DEP_1)
	v_add_nc_u32_e32 v35, v34, v35
	v_mul_hi_u32 v34, 0xbc8f1391, v35
	s_delay_alu instid0(VALU_DEP_1) | instskip(NEXT) | instid1(VALU_DEP_1)
	v_lshrrev_b32_e32 v34, 15, v34
	v_mul_u32_u24_e32 v36, 0xadc8, v34
	v_mul_u32_u24_e32 v34, 0xd47, v34
	s_delay_alu instid0(VALU_DEP_2) | instskip(NEXT) | instid1(VALU_DEP_2)
	v_sub_nc_u32_e32 v36, v35, v36
	v_xor_b32_e32 v37, 0x7fffffff, v34
	s_delay_alu instid0(VALU_DEP_2) | instskip(SKIP_1) | instid1(VALU_DEP_2)
	v_mul_lo_u32 v36, 0xbc8f, v36
	v_sub_nc_u32_e32 v38, 0, v34
	v_cmp_lt_u32_e32 vcc_lo, v36, v34
	s_delay_alu instid0(VALU_DEP_2) | instskip(NEXT) | instid1(VALU_DEP_1)
	v_dual_cndmask_b32 v34, v38, v37, vcc_lo :: v_dual_add_f32 v38, 1.0, v32
	v_add_nc_u32_e32 v36, v34, v36
	s_delay_alu instid0(VALU_DEP_1) | instskip(NEXT) | instid1(VALU_DEP_1)
	v_mul_hi_u32 v34, 0xbc8f1391, v36
	v_lshrrev_b32_e32 v34, 15, v34
	s_delay_alu instid0(VALU_DEP_1) | instskip(SKIP_2) | instid1(VALU_DEP_3)
	v_mul_u32_u24_e32 v37, 0xadc8, v34
	v_mul_u32_u24_e32 v39, 0xd47, v34
	v_cvt_f32_u32_e32 v34, v33
	v_sub_nc_u32_e32 v37, v36, v37
	s_delay_alu instid0(VALU_DEP_3) | instskip(SKIP_1) | instid1(VALU_DEP_3)
	v_xor_b32_e32 v33, 0x7fffffff, v39
	v_dual_sub_nc_u32 v40, 0, v39 :: v_dual_add_nc_u32 v36, -1, v36
	v_mul_lo_u32 v37, 0xbc8f, v37
	s_delay_alu instid0(VALU_DEP_2) | instskip(NEXT) | instid1(VALU_DEP_2)
	v_cvt_f32_u32_e32 v36, v36
	v_cmp_lt_u32_e32 vcc_lo, v37, v39
	s_delay_alu instid0(VALU_DEP_4) | instskip(NEXT) | instid1(VALU_DEP_1)
	v_dual_add_nc_u32 v35, -1, v35 :: v_dual_cndmask_b32 v33, v40, v33, vcc_lo
	v_cvt_f32_u32_e32 v35, v35
	s_delay_alu instid0(VALU_DEP_2) | instskip(NEXT) | instid1(VALU_DEP_2)
	v_add_nc_u32_e32 v33, v33, v37
	v_pk_fma_f32 v[34:35], v[34:35], s[44:45], 0 op_sel_hi:[1,0,0]
	s_delay_alu instid0(VALU_DEP_1) | instskip(NEXT) | instid1(VALU_DEP_1)
	v_pk_mul_f32 v[34:35], v[34:35], v[34:35]
	v_dual_add_nc_u32 v37, -1, v33 :: v_dual_add_f32 v39, v34, v35
	s_delay_alu instid0(VALU_DEP_1) | instskip(NEXT) | instid1(VALU_DEP_2)
	v_cvt_f32_u32_e32 v37, v37
	v_cmp_gt_f32_e32 vcc_lo, 0xf800000, v39
	s_delay_alu instid0(VALU_DEP_2) | instskip(NEXT) | instid1(VALU_DEP_1)
	v_pk_fma_f32 v[34:35], v[36:37], s[44:45], 0 op_sel_hi:[1,0,0]
	v_pk_mul_f32 v[34:35], v[34:35], v[34:35]
	s_delay_alu instid0(VALU_DEP_1) | instskip(NEXT) | instid1(VALU_DEP_1)
	v_add_f32_e32 v34, v34, v35
	v_dual_mul_f32 v36, 0x4f800000, v39 :: v_dual_mul_f32 v37, 0x4f800000, v34
	s_delay_alu instid0(VALU_DEP_1) | instskip(SKIP_1) | instid1(VALU_DEP_2)
	v_cndmask_b32_e32 v36, v39, v36, vcc_lo
	v_cmp_gt_f32_e64 s33, 0xf800000, v34
	v_sqrt_f32_e32 v35, v36
	v_nop
	s_delay_alu instid0(TRANS32_DEP_1) | instskip(NEXT) | instid1(VALU_DEP_1)
	v_dual_add_nc_u32 v39, -1, v35 :: v_dual_cndmask_b32 v34, v34, v37, s33
	v_dual_add_nc_u32 v37, 1, v35 :: v_dual_fma_f32 v40, -v39, v35, v36
	s_delay_alu instid0(VALU_DEP_2) | instskip(NEXT) | instid1(VALU_DEP_1)
	v_sqrt_f32_e32 v41, v34
	v_fma_f32 v42, -v37, v35, v36
	s_delay_alu instid0(VALU_DEP_2)
	v_cmp_ge_f32_e64 s34, 0, v40
	s_delay_alu instid0(TRANS32_DEP_1) | instid1(VALU_DEP_1)
	v_dual_cndmask_b32 v35, v35, v39, s34 :: v_dual_add_nc_u32 v39, -1, v41
	s_delay_alu instid0(VALU_DEP_3) | instskip(NEXT) | instid1(VALU_DEP_1)
	v_cmp_lt_f32_e64 s34, 0, v42
	v_cndmask_b32_e64 v35, v35, v37, s34
	s_delay_alu instid0(VALU_DEP_3) | instskip(NEXT) | instid1(VALU_DEP_1)
	v_dual_add_nc_u32 v37, 1, v41 :: v_dual_fma_f32 v40, -v39, v41, v34
	v_fma_f32 v43, -v37, v41, v34
	s_delay_alu instid0(VALU_DEP_2) | instskip(NEXT) | instid1(VALU_DEP_1)
	v_cmp_ge_f32_e64 s34, 0, v40
	v_cndmask_b32_e64 v39, v41, v39, s34
	v_mul_f32_e32 v42, 0x37800000, v35
	s_delay_alu instid0(VALU_DEP_4) | instskip(NEXT) | instid1(VALU_DEP_1)
	v_cmp_lt_f32_e64 s34, 0, v43
	v_cndmask_b32_e64 v37, v39, v37, s34
	s_delay_alu instid0(VALU_DEP_3) | instskip(SKIP_1) | instid1(VALU_DEP_2)
	v_cndmask_b32_e32 v35, v35, v42, vcc_lo
	v_cmp_class_f32_e64 vcc_lo, v36, 0x260
	v_cndmask_b32_e32 v35, v35, v36, vcc_lo
	s_delay_alu instid0(VALU_DEP_1) | instskip(SKIP_3) | instid1(VALU_DEP_2)
	v_cmp_nge_f32_e32 vcc_lo, 1.0, v35
	v_cndmask_b32_e32 v32, v38, v32, vcc_lo
	v_mul_f32_e32 v36, 0x37800000, v37
	v_cmp_class_f32_e64 vcc_lo, v34, 0x260
	v_cndmask_b32_e64 v35, v37, v36, s33
	s_delay_alu instid0(VALU_DEP_1) | instskip(NEXT) | instid1(VALU_DEP_1)
	v_dual_add_f32 v36, 1.0, v32 :: v_dual_cndmask_b32 v34, v35, v34, vcc_lo
	v_cmp_nge_f32_e32 vcc_lo, 1.0, v34
	s_delay_alu instid0(VALU_DEP_2)
	v_cndmask_b32_e32 v32, v36, v32, vcc_lo
	s_cbranch_scc1 .LBB27_242
; %bb.243:
	s_delay_alu instid0(VALU_DEP_1) | instskip(NEXT) | instid1(VALU_DEP_1)
	v_mul_f32_e32 v32, 4.0, v32
	v_div_scale_f32 v33, null, 0x461c4000, 0x461c4000, v32
	s_delay_alu instid0(VALU_DEP_1) | instskip(SKIP_1) | instid1(TRANS32_DEP_1)
	v_rcp_f32_e32 v34, v33
	v_nop
	v_fma_f32 v35, -v33, v34, 1.0
	s_delay_alu instid0(VALU_DEP_1) | instskip(SKIP_1) | instid1(VALU_DEP_1)
	v_fmac_f32_e32 v34, v35, v34
	v_div_scale_f32 v35, vcc_lo, v32, 0x461c4000, v32
	v_mul_f32_e32 v36, v35, v34
	s_delay_alu instid0(VALU_DEP_1) | instskip(NEXT) | instid1(VALU_DEP_1)
	v_fma_f32 v37, -v33, v36, v35
	v_fmac_f32_e32 v36, v37, v34
	s_delay_alu instid0(VALU_DEP_1) | instskip(NEXT) | instid1(VALU_DEP_1)
	v_fma_f32 v33, -v33, v36, v35
	v_div_fmas_f32 v33, v33, v34, v36
	s_delay_alu instid0(VALU_DEP_1)
	v_div_fixup_f32 v32, v33, 0x461c4000, v32
.LBB27_244:
	s_or_b32 exec_lo, exec_lo, s47
	v_or_b32_e32 v33, 0x1f00, v0
	s_delay_alu instid0(VALU_DEP_1)
	v_cmp_gt_u32_e64 s33, s46, v33
	s_and_saveexec_b32 s47, s33
	s_cbranch_execz .LBB27_248
; %bb.245:
	v_add_nc_u32_e32 v31, s35, v33
	s_movk_i32 s48, 0x2710
	s_brev_b32 s44, 12
	s_delay_alu instid0(VALU_DEP_1) | instskip(NEXT) | instid1(VALU_DEP_1)
	v_lshlrev_b32_e32 v33, 12, v31
	v_add3_u32 v31, v31, v33, 0x7ed55d16
	s_delay_alu instid0(VALU_DEP_1) | instskip(NEXT) | instid1(VALU_DEP_1)
	v_lshrrev_b32_e32 v33, 19, v31
	v_xor3_b32 v31, v31, v33, 0xc761c23c
	s_delay_alu instid0(VALU_DEP_1) | instskip(NEXT) | instid1(VALU_DEP_1)
	v_lshl_add_u32 v31, v31, 5, v31
	v_add_nc_u32_e32 v33, 0xe9f8cc1d, v31
	v_lshl_add_u32 v31, v31, 9, 0xaccf6200
	s_delay_alu instid0(VALU_DEP_1) | instskip(NEXT) | instid1(VALU_DEP_1)
	v_xor_b32_e32 v31, v33, v31
	v_lshlrev_b32_e32 v33, 3, v31
	s_delay_alu instid0(VALU_DEP_1) | instskip(NEXT) | instid1(VALU_DEP_1)
	v_add3_u32 v31, v31, v33, 0xfd7046c5
	v_lshrrev_b32_e32 v33, 16, v31
	s_delay_alu instid0(VALU_DEP_1) | instskip(NEXT) | instid1(VALU_DEP_1)
	v_xor3_b32 v31, v31, v33, 0xb55a4f09
	v_mul_hi_u32 v33, v31, 3
	s_delay_alu instid0(VALU_DEP_1) | instskip(NEXT) | instid1(VALU_DEP_1)
	v_sub_nc_u32_e32 v34, v31, v33
	v_lshrrev_b32_e32 v34, 1, v34
	s_delay_alu instid0(VALU_DEP_1) | instskip(NEXT) | instid1(VALU_DEP_1)
	v_add_nc_u32_e32 v33, v34, v33
	v_lshrrev_b32_e32 v33, 30, v33
	s_delay_alu instid0(VALU_DEP_1) | instskip(NEXT) | instid1(VALU_DEP_1)
	v_mul_lo_u32 v33, 0x7fffffff, v33
	v_sub_nc_u32_e32 v31, v31, v33
	s_delay_alu instid0(VALU_DEP_1)
	v_max_u32_e32 v33, 1, v31
	v_mov_b32_e32 v31, 0
.LBB27_246:                             ; =>This Inner Loop Header: Depth=1
	s_delay_alu instid0(VALU_DEP_2) | instskip(SKIP_1) | instid1(SALU_CYCLE_1)
	v_mul_hi_u32 v34, 0xbc8f1391, v33
	s_add_co_i32 s48, s48, -2
	s_cmp_lg_u32 s48, 0
	s_delay_alu instid0(VALU_DEP_1) | instskip(NEXT) | instid1(VALU_DEP_1)
	v_lshrrev_b32_e32 v34, 15, v34
	v_mul_u32_u24_e32 v35, 0xadc8, v34
	s_delay_alu instid0(VALU_DEP_1) | instskip(SKIP_1) | instid1(VALU_DEP_2)
	v_sub_nc_u32_e32 v33, v33, v35
	v_mul_u32_u24_e32 v34, 0xd47, v34
	v_mul_lo_u32 v33, 0xbc8f, v33
	s_delay_alu instid0(VALU_DEP_2) | instskip(SKIP_1) | instid1(VALU_DEP_3)
	v_xor_b32_e32 v35, 0x7fffffff, v34
	v_sub_nc_u32_e32 v36, 0, v34
	v_cmp_lt_u32_e32 vcc_lo, v33, v34
	s_delay_alu instid0(VALU_DEP_2) | instskip(NEXT) | instid1(VALU_DEP_1)
	v_cndmask_b32_e32 v34, v36, v35, vcc_lo
	v_add_nc_u32_e32 v33, v34, v33
	s_delay_alu instid0(VALU_DEP_1) | instskip(NEXT) | instid1(VALU_DEP_1)
	v_mul_hi_u32 v34, 0xbc8f1391, v33
	v_lshrrev_b32_e32 v34, 15, v34
	s_delay_alu instid0(VALU_DEP_1) | instskip(SKIP_1) | instid1(VALU_DEP_2)
	v_mul_u32_u24_e32 v35, 0xadc8, v34
	v_mul_u32_u24_e32 v34, 0xd47, v34
	v_sub_nc_u32_e32 v35, v33, v35
	s_delay_alu instid0(VALU_DEP_2) | instskip(SKIP_1) | instid1(VALU_DEP_3)
	v_xor_b32_e32 v36, 0x7fffffff, v34
	v_add_nc_u32_e32 v33, -1, v33
	v_mul_lo_u32 v35, 0xbc8f, v35
	v_sub_nc_u32_e32 v37, 0, v34
	s_delay_alu instid0(VALU_DEP_2) | instskip(NEXT) | instid1(VALU_DEP_2)
	v_cmp_lt_u32_e32 vcc_lo, v35, v34
	v_cndmask_b32_e32 v34, v37, v36, vcc_lo
	s_delay_alu instid0(VALU_DEP_1) | instskip(NEXT) | instid1(VALU_DEP_1)
	v_add_nc_u32_e32 v35, v34, v35
	v_mul_hi_u32 v34, 0xbc8f1391, v35
	s_delay_alu instid0(VALU_DEP_1) | instskip(NEXT) | instid1(VALU_DEP_1)
	v_lshrrev_b32_e32 v34, 15, v34
	v_mul_u32_u24_e32 v36, 0xadc8, v34
	v_mul_u32_u24_e32 v34, 0xd47, v34
	s_delay_alu instid0(VALU_DEP_2) | instskip(NEXT) | instid1(VALU_DEP_2)
	v_sub_nc_u32_e32 v36, v35, v36
	v_xor_b32_e32 v37, 0x7fffffff, v34
	s_delay_alu instid0(VALU_DEP_2) | instskip(SKIP_1) | instid1(VALU_DEP_2)
	v_mul_lo_u32 v36, 0xbc8f, v36
	v_sub_nc_u32_e32 v38, 0, v34
	v_cmp_lt_u32_e32 vcc_lo, v36, v34
	s_delay_alu instid0(VALU_DEP_2) | instskip(NEXT) | instid1(VALU_DEP_1)
	v_dual_cndmask_b32 v34, v38, v37, vcc_lo :: v_dual_add_f32 v38, 1.0, v31
	v_add_nc_u32_e32 v36, v34, v36
	s_delay_alu instid0(VALU_DEP_1) | instskip(NEXT) | instid1(VALU_DEP_1)
	v_mul_hi_u32 v34, 0xbc8f1391, v36
	v_lshrrev_b32_e32 v34, 15, v34
	s_delay_alu instid0(VALU_DEP_1) | instskip(SKIP_2) | instid1(VALU_DEP_3)
	v_mul_u32_u24_e32 v37, 0xadc8, v34
	v_mul_u32_u24_e32 v39, 0xd47, v34
	v_cvt_f32_u32_e32 v34, v33
	v_sub_nc_u32_e32 v37, v36, v37
	s_delay_alu instid0(VALU_DEP_3) | instskip(SKIP_1) | instid1(VALU_DEP_3)
	v_xor_b32_e32 v33, 0x7fffffff, v39
	v_dual_sub_nc_u32 v40, 0, v39 :: v_dual_add_nc_u32 v36, -1, v36
	v_mul_lo_u32 v37, 0xbc8f, v37
	s_delay_alu instid0(VALU_DEP_2) | instskip(NEXT) | instid1(VALU_DEP_2)
	v_cvt_f32_u32_e32 v36, v36
	v_cmp_lt_u32_e32 vcc_lo, v37, v39
	s_delay_alu instid0(VALU_DEP_4) | instskip(NEXT) | instid1(VALU_DEP_1)
	v_dual_add_nc_u32 v35, -1, v35 :: v_dual_cndmask_b32 v33, v40, v33, vcc_lo
	v_cvt_f32_u32_e32 v35, v35
	s_delay_alu instid0(VALU_DEP_2) | instskip(NEXT) | instid1(VALU_DEP_2)
	v_add_nc_u32_e32 v33, v33, v37
	v_pk_fma_f32 v[34:35], v[34:35], s[44:45], 0 op_sel_hi:[1,0,0]
	s_delay_alu instid0(VALU_DEP_1) | instskip(NEXT) | instid1(VALU_DEP_1)
	v_pk_mul_f32 v[34:35], v[34:35], v[34:35]
	v_dual_add_nc_u32 v37, -1, v33 :: v_dual_add_f32 v39, v34, v35
	s_delay_alu instid0(VALU_DEP_1) | instskip(NEXT) | instid1(VALU_DEP_2)
	v_cvt_f32_u32_e32 v37, v37
	v_cmp_gt_f32_e32 vcc_lo, 0xf800000, v39
	s_delay_alu instid0(VALU_DEP_2) | instskip(NEXT) | instid1(VALU_DEP_1)
	v_pk_fma_f32 v[34:35], v[36:37], s[44:45], 0 op_sel_hi:[1,0,0]
	v_pk_mul_f32 v[34:35], v[34:35], v[34:35]
	s_delay_alu instid0(VALU_DEP_1) | instskip(NEXT) | instid1(VALU_DEP_1)
	v_add_f32_e32 v34, v34, v35
	v_dual_mul_f32 v36, 0x4f800000, v39 :: v_dual_mul_f32 v37, 0x4f800000, v34
	s_delay_alu instid0(VALU_DEP_1) | instskip(SKIP_1) | instid1(VALU_DEP_2)
	v_cndmask_b32_e32 v36, v39, v36, vcc_lo
	v_cmp_gt_f32_e64 s34, 0xf800000, v34
	v_sqrt_f32_e32 v35, v36
	v_nop
	s_delay_alu instid0(TRANS32_DEP_1) | instskip(NEXT) | instid1(VALU_DEP_1)
	v_dual_add_nc_u32 v39, -1, v35 :: v_dual_cndmask_b32 v34, v34, v37, s34
	v_dual_add_nc_u32 v37, 1, v35 :: v_dual_fma_f32 v40, -v39, v35, v36
	s_delay_alu instid0(VALU_DEP_2) | instskip(NEXT) | instid1(VALU_DEP_1)
	v_sqrt_f32_e32 v41, v34
	v_fma_f32 v42, -v37, v35, v36
	s_delay_alu instid0(VALU_DEP_2)
	v_cmp_ge_f32_e64 s35, 0, v40
	s_delay_alu instid0(TRANS32_DEP_1) | instid1(VALU_DEP_1)
	v_dual_cndmask_b32 v35, v35, v39, s35 :: v_dual_add_nc_u32 v39, -1, v41
	s_delay_alu instid0(VALU_DEP_3) | instskip(NEXT) | instid1(VALU_DEP_1)
	v_cmp_lt_f32_e64 s35, 0, v42
	v_cndmask_b32_e64 v35, v35, v37, s35
	s_delay_alu instid0(VALU_DEP_3) | instskip(NEXT) | instid1(VALU_DEP_1)
	v_dual_add_nc_u32 v37, 1, v41 :: v_dual_fma_f32 v40, -v39, v41, v34
	v_fma_f32 v43, -v37, v41, v34
	s_delay_alu instid0(VALU_DEP_2) | instskip(NEXT) | instid1(VALU_DEP_1)
	v_cmp_ge_f32_e64 s35, 0, v40
	v_cndmask_b32_e64 v39, v41, v39, s35
	v_mul_f32_e32 v42, 0x37800000, v35
	s_delay_alu instid0(VALU_DEP_4) | instskip(NEXT) | instid1(VALU_DEP_1)
	v_cmp_lt_f32_e64 s35, 0, v43
	v_cndmask_b32_e64 v37, v39, v37, s35
	s_delay_alu instid0(VALU_DEP_3) | instskip(SKIP_1) | instid1(VALU_DEP_2)
	v_cndmask_b32_e32 v35, v35, v42, vcc_lo
	v_cmp_class_f32_e64 vcc_lo, v36, 0x260
	v_cndmask_b32_e32 v35, v35, v36, vcc_lo
	s_delay_alu instid0(VALU_DEP_1) | instskip(SKIP_2) | instid1(VALU_DEP_2)
	v_cmp_nge_f32_e32 vcc_lo, 1.0, v35
	v_dual_cndmask_b32 v31, v38, v31 :: v_dual_mul_f32 v36, 0x37800000, v37
	v_cmp_class_f32_e64 vcc_lo, v34, 0x260
	v_dual_cndmask_b32 v35, v37, v36, s34 :: v_dual_add_f32 v36, 1.0, v31
	s_delay_alu instid0(VALU_DEP_1) | instskip(NEXT) | instid1(VALU_DEP_1)
	v_cndmask_b32_e32 v34, v35, v34, vcc_lo
	v_cmp_nge_f32_e32 vcc_lo, 1.0, v34
	s_delay_alu instid0(VALU_DEP_3)
	v_cndmask_b32_e32 v31, v36, v31, vcc_lo
	s_cbranch_scc1 .LBB27_246
; %bb.247:
	s_delay_alu instid0(VALU_DEP_1) | instskip(NEXT) | instid1(VALU_DEP_1)
	v_mul_f32_e32 v31, 4.0, v31
	v_div_scale_f32 v33, null, 0x461c4000, 0x461c4000, v31
	s_delay_alu instid0(VALU_DEP_1) | instskip(SKIP_1) | instid1(TRANS32_DEP_1)
	v_rcp_f32_e32 v34, v33
	v_nop
	v_fma_f32 v35, -v33, v34, 1.0
	s_delay_alu instid0(VALU_DEP_1) | instskip(SKIP_1) | instid1(VALU_DEP_1)
	v_fmac_f32_e32 v34, v35, v34
	v_div_scale_f32 v35, vcc_lo, v31, 0x461c4000, v31
	v_mul_f32_e32 v36, v35, v34
	s_delay_alu instid0(VALU_DEP_1) | instskip(NEXT) | instid1(VALU_DEP_1)
	v_fma_f32 v37, -v33, v36, v35
	v_fmac_f32_e32 v36, v37, v34
	s_delay_alu instid0(VALU_DEP_1) | instskip(NEXT) | instid1(VALU_DEP_1)
	v_fma_f32 v33, -v33, v36, v35
	v_div_fmas_f32 v33, v33, v34, v36
	s_delay_alu instid0(VALU_DEP_1)
	v_div_fixup_f32 v31, v33, 0x461c4000, v31
.LBB27_248:
	s_or_b32 exec_lo, exec_lo, s47
	v_add_f32_e32 v1, v2, v1
	s_delay_alu instid0(VALU_DEP_1) | instskip(NEXT) | instid1(VALU_DEP_1)
	v_cndmask_b32_e64 v1, v2, v1, s2
	v_add_f32_e32 v2, v4, v1
	s_delay_alu instid0(VALU_DEP_1) | instskip(SKIP_1) | instid1(VALU_DEP_1)
	v_cndmask_b32_e64 v1, v1, v2, s3
	s_min_u32 s3, s46, 0x100
	v_add_f32_e32 v2, v3, v1
	s_delay_alu instid0(VALU_DEP_1) | instskip(NEXT) | instid1(VALU_DEP_1)
	v_cndmask_b32_e64 v1, v1, v2, s4
	v_add_f32_e32 v2, v6, v1
	s_delay_alu instid0(VALU_DEP_1) | instskip(NEXT) | instid1(VALU_DEP_1)
	v_cndmask_b32_e64 v1, v1, v2, s5
	v_add_f32_e32 v2, v5, v1
	s_delay_alu instid0(VALU_DEP_1) | instskip(NEXT) | instid1(VALU_DEP_1)
	v_cndmask_b32_e64 v1, v1, v2, s6
	v_add_f32_e32 v2, v8, v1
	s_delay_alu instid0(VALU_DEP_1) | instskip(NEXT) | instid1(VALU_DEP_1)
	v_cndmask_b32_e64 v1, v1, v2, s7
	v_add_f32_e32 v2, v7, v1
	s_delay_alu instid0(VALU_DEP_1) | instskip(NEXT) | instid1(VALU_DEP_1)
	v_cndmask_b32_e64 v1, v1, v2, s8
	v_add_f32_e32 v2, v10, v1
	s_delay_alu instid0(VALU_DEP_1) | instskip(NEXT) | instid1(VALU_DEP_1)
	v_cndmask_b32_e64 v1, v1, v2, s9
	v_add_f32_e32 v2, v9, v1
	s_delay_alu instid0(VALU_DEP_1) | instskip(NEXT) | instid1(VALU_DEP_1)
	v_cndmask_b32_e64 v1, v1, v2, s10
	v_add_f32_e32 v2, v12, v1
	s_delay_alu instid0(VALU_DEP_1) | instskip(NEXT) | instid1(VALU_DEP_1)
	v_cndmask_b32_e64 v1, v1, v2, s11
	v_add_f32_e32 v2, v11, v1
	s_delay_alu instid0(VALU_DEP_1) | instskip(NEXT) | instid1(VALU_DEP_1)
	v_cndmask_b32_e64 v1, v1, v2, s12
	v_add_f32_e32 v2, v14, v1
	s_delay_alu instid0(VALU_DEP_1) | instskip(NEXT) | instid1(VALU_DEP_1)
	v_cndmask_b32_e64 v1, v1, v2, s13
	v_add_f32_e32 v2, v13, v1
	s_delay_alu instid0(VALU_DEP_1) | instskip(NEXT) | instid1(VALU_DEP_1)
	v_cndmask_b32_e64 v1, v1, v2, s14
	v_add_f32_e32 v2, v16, v1
	s_delay_alu instid0(VALU_DEP_1) | instskip(NEXT) | instid1(VALU_DEP_1)
	v_cndmask_b32_e64 v1, v1, v2, s15
	v_add_f32_e32 v2, v15, v1
	s_delay_alu instid0(VALU_DEP_1) | instskip(NEXT) | instid1(VALU_DEP_1)
	v_cndmask_b32_e64 v1, v1, v2, s16
	v_add_f32_e32 v2, v18, v1
	s_delay_alu instid0(VALU_DEP_1) | instskip(NEXT) | instid1(VALU_DEP_1)
	v_cndmask_b32_e64 v1, v1, v2, s17
	v_add_f32_e32 v2, v17, v1
	s_delay_alu instid0(VALU_DEP_1) | instskip(NEXT) | instid1(VALU_DEP_1)
	v_cndmask_b32_e64 v1, v1, v2, s18
	v_add_f32_e32 v2, v20, v1
	s_delay_alu instid0(VALU_DEP_1) | instskip(NEXT) | instid1(VALU_DEP_1)
	v_cndmask_b32_e64 v1, v1, v2, s19
	v_add_f32_e32 v2, v19, v1
	s_delay_alu instid0(VALU_DEP_1) | instskip(NEXT) | instid1(VALU_DEP_1)
	v_cndmask_b32_e64 v1, v1, v2, s20
	v_add_f32_e32 v2, v22, v1
	s_delay_alu instid0(VALU_DEP_1) | instskip(NEXT) | instid1(VALU_DEP_1)
	v_cndmask_b32_e64 v1, v1, v2, s21
	v_add_f32_e32 v2, v21, v1
	s_delay_alu instid0(VALU_DEP_1) | instskip(NEXT) | instid1(VALU_DEP_1)
	v_cndmask_b32_e64 v1, v1, v2, s22
	v_add_f32_e32 v2, v24, v1
	s_delay_alu instid0(VALU_DEP_1) | instskip(NEXT) | instid1(VALU_DEP_1)
	v_cndmask_b32_e64 v1, v1, v2, s23
	v_add_f32_e32 v2, v23, v1
	s_delay_alu instid0(VALU_DEP_1) | instskip(NEXT) | instid1(VALU_DEP_1)
	v_cndmask_b32_e64 v1, v1, v2, s24
	v_add_f32_e32 v2, v26, v1
	s_delay_alu instid0(VALU_DEP_1) | instskip(NEXT) | instid1(VALU_DEP_1)
	v_cndmask_b32_e64 v1, v1, v2, s25
	v_add_f32_e32 v2, v25, v1
	s_delay_alu instid0(VALU_DEP_1) | instskip(NEXT) | instid1(VALU_DEP_1)
	v_cndmask_b32_e64 v1, v1, v2, s26
	v_add_f32_e32 v2, v28, v1
	s_delay_alu instid0(VALU_DEP_1) | instskip(NEXT) | instid1(VALU_DEP_1)
	v_cndmask_b32_e64 v1, v1, v2, s27
	v_add_f32_e32 v2, v27, v1
	s_delay_alu instid0(VALU_DEP_1) | instskip(NEXT) | instid1(VALU_DEP_1)
	v_cndmask_b32_e64 v1, v1, v2, s28
	v_add_f32_e32 v2, v30, v1
	s_delay_alu instid0(VALU_DEP_1) | instskip(NEXT) | instid1(VALU_DEP_1)
	v_cndmask_b32_e64 v1, v1, v2, s29
	v_add_f32_e32 v2, v29, v1
	s_delay_alu instid0(VALU_DEP_1) | instskip(SKIP_1) | instid1(VALU_DEP_2)
	v_cndmask_b32_e64 v1, v1, v2, s30
	v_mbcnt_lo_u32_b32 v2, -1, 0
	v_add_f32_e32 v3, v32, v1
	s_delay_alu instid0(VALU_DEP_2) | instskip(SKIP_2) | instid1(VALU_DEP_4)
	v_cmp_ne_u32_e32 vcc_lo, 31, v2
	v_add_nc_u32_e32 v6, 1, v2
	v_cmp_gt_u32_e64 s2, 28, v2
	v_dual_add_nc_u32 v7, 2, v2 :: v_dual_cndmask_b32 v1, v1, v3, s31
	v_add_co_ci_u32_e64 v3, null, 0, v2, vcc_lo
	v_cmp_gt_u32_e32 vcc_lo, 30, v2
	s_delay_alu instid0(VALU_DEP_2) | instskip(SKIP_1) | instid1(VALU_DEP_2)
	v_dual_add_f32 v4, v31, v1 :: v_dual_lshlrev_b32 v3, 2, v3
	v_cndmask_b32_e64 v5, 0, 2, vcc_lo
	v_cndmask_b32_e64 v1, v1, v4, s33
	v_and_b32_e32 v4, 0xe0, v0
	s_delay_alu instid0(VALU_DEP_3) | instskip(SKIP_2) | instid1(VALU_DEP_1)
	v_add_lshl_u32 v5, v5, v2, 2
	ds_bpermute_b32 v3, v3, v1
	v_sub_nc_u32_e64 v4, s3, v4 clamp
	v_cmp_lt_u32_e32 vcc_lo, v6, v4
	v_cndmask_b32_e64 v6, 0, 4, s2
	v_cmp_lt_u32_e64 s2, v7, v4
	v_add_nc_u32_e32 v7, 4, v2
	s_delay_alu instid0(VALU_DEP_3) | instskip(SKIP_2) | instid1(VALU_DEP_1)
	v_add_lshl_u32 v6, v6, v2, 2
	s_wait_dscnt 0x0
	v_add_f32_e32 v3, v1, v3
	v_cndmask_b32_e32 v3, v1, v3, vcc_lo
	ds_bpermute_b32 v5, v5, v3
	s_wait_dscnt 0x0
	v_add_f32_e32 v5, v3, v5
	s_delay_alu instid0(VALU_DEP_1)
	v_cndmask_b32_e64 v3, v3, v5, s2
	v_cmp_gt_u32_e64 s2, 24, v2
	ds_bpermute_b32 v5, v6, v3
	v_cndmask_b32_e64 v6, 0, 8, s2
	v_cmp_lt_u32_e64 s2, v7, v4
	v_add_nc_u32_e32 v7, 8, v2
	s_delay_alu instid0(VALU_DEP_3) | instskip(SKIP_2) | instid1(VALU_DEP_1)
	v_add_lshl_u32 v6, v6, v2, 2
	s_wait_dscnt 0x0
	v_add_f32_e32 v5, v3, v5
	v_dual_cndmask_b32 v5, v3, v5, s2 :: v_dual_lshlrev_b32 v3, 2, v2
	v_cmp_lt_u32_e64 s2, v7, v4
	v_add_nc_u32_e32 v7, 16, v2
	ds_bpermute_b32 v6, v6, v5
	s_wait_dscnt 0x0
	v_dual_add_f32 v6, v5, v6 :: v_dual_bitop2_b32 v8, 64, v3 bitop3:0x54
	s_delay_alu instid0(VALU_DEP_1) | instskip(SKIP_4) | instid1(VALU_DEP_1)
	v_cndmask_b32_e64 v5, v5, v6, s2
	v_cmp_lt_u32_e64 s2, v7, v4
	ds_bpermute_b32 v6, v8, v5
	s_wait_dscnt 0x0
	v_add_f32_e32 v6, v5, v6
	v_cndmask_b32_e64 v4, v5, v6, s2
	s_mov_b32 s2, exec_lo
	s_delay_alu instid0(VALU_DEP_1)
	v_cndmask_b32_e32 v1, v1, v4, vcc_lo
	v_cmpx_eq_u32_e32 0, v2
; %bb.249:
	v_lshrrev_b32_e32 v4, 3, v0
	s_delay_alu instid0(VALU_DEP_1)
	v_and_b32_e32 v4, 28, v4
	ds_store_b32 v4, v1 offset:192
; %bb.250:
	s_or_b32 exec_lo, exec_lo, s2
	s_delay_alu instid0(SALU_CYCLE_1)
	s_mov_b32 s4, exec_lo
	s_wait_dscnt 0x0
	s_barrier_signal -1
	s_barrier_wait -1
	v_cmpx_gt_u32_e32 8, v0
	s_cbranch_execz .LBB27_252
; %bb.251:
	ds_load_b32 v1, v3 offset:192
	v_and_b32_e32 v4, 7, v2
	s_add_co_i32 s3, s3, 31
	v_or_b32_e32 v3, 16, v3
	s_lshr_b32 s3, s3, 5
	s_delay_alu instid0(VALU_DEP_2) | instskip(SKIP_1) | instid1(VALU_DEP_1)
	v_cmp_ne_u32_e32 vcc_lo, 7, v4
	v_add_co_ci_u32_e64 v5, null, 0, v2, vcc_lo
	v_lshlrev_b32_e32 v5, 2, v5
	v_cmp_gt_u32_e32 vcc_lo, 6, v4
	s_wait_dscnt 0x0
	ds_bpermute_b32 v5, v5, v1
	v_add_nc_u32_e32 v7, 1, v4
	v_cndmask_b32_e64 v6, 0, 2, vcc_lo
	s_delay_alu instid0(VALU_DEP_1) | instskip(SKIP_1) | instid1(VALU_DEP_1)
	v_add_lshl_u32 v2, v6, v2, 2
	v_dual_add_nc_u32 v6, 2, v4 :: v_dual_add_nc_u32 v4, 4, v4
	v_cmp_gt_u32_e64 s2, s3, v6
	s_wait_dscnt 0x0
	v_add_f32_e32 v5, v1, v5
	v_cmp_gt_u32_e32 vcc_lo, s3, v7
	s_delay_alu instid0(VALU_DEP_2) | instskip(SKIP_3) | instid1(VALU_DEP_1)
	v_cndmask_b32_e32 v5, v1, v5, vcc_lo
	ds_bpermute_b32 v2, v2, v5
	s_wait_dscnt 0x0
	v_add_f32_e32 v2, v5, v2
	v_cndmask_b32_e64 v2, v5, v2, s2
	v_cmp_gt_u32_e64 s2, s3, v4
	ds_bpermute_b32 v3, v3, v2
	s_wait_dscnt 0x0
	v_add_f32_e32 v3, v2, v3
	s_delay_alu instid0(VALU_DEP_1) | instskip(NEXT) | instid1(VALU_DEP_1)
	v_cndmask_b32_e64 v2, v2, v3, s2
	v_cndmask_b32_e32 v1, v1, v2, vcc_lo
.LBB27_252:
	s_or_b32 exec_lo, exec_lo, s4
	v_cmp_eq_u32_e64 s2, 0, v0
	s_and_b32 vcc_lo, exec_lo, s45
	s_cbranch_vccnz .LBB27_79
.LBB27_253:
	s_branch .LBB27_350
.LBB27_254:
	s_mov_b32 s2, -1
                                        ; implicit-def: $vgpr1
.LBB27_255:
	s_delay_alu instid0(SALU_CYCLE_1)
	s_and_b32 vcc_lo, exec_lo, s2
	s_cbranch_vccz .LBB27_325
; %bb.256:
	v_mov_b32_e32 v2, 0
	s_sub_co_i32 s21, s36, s6
	s_mov_b32 s5, exec_lo
	s_delay_alu instid0(VALU_DEP_1)
	v_dual_mov_b32 v1, v2 :: v_dual_mov_b32 v4, v2
	v_dual_mov_b32 v3, v2 :: v_dual_mov_b32 v6, v2
	;; [unrolled: 1-line block ×7, first 2 shown]
	v_mov_b32_e32 v15, v2
	v_cmpx_gt_u32_e64 s21, v0
	s_cbranch_execz .LBB27_260
; %bb.257:
	v_add_nc_u32_e32 v1, s19, v0
	s_movk_i32 s6, 0x2710
	s_brev_b32 s4, 12
	s_delay_alu instid0(VALU_DEP_1) | instskip(NEXT) | instid1(VALU_DEP_1)
	v_lshlrev_b32_e32 v3, 12, v1
	v_add3_u32 v1, v1, v3, 0x7ed55d16
	s_delay_alu instid0(VALU_DEP_1) | instskip(NEXT) | instid1(VALU_DEP_1)
	v_lshrrev_b32_e32 v3, 19, v1
	v_xor3_b32 v1, v1, v3, 0xc761c23c
	s_delay_alu instid0(VALU_DEP_1) | instskip(NEXT) | instid1(VALU_DEP_1)
	v_lshl_add_u32 v1, v1, 5, v1
	v_add_nc_u32_e32 v3, 0xe9f8cc1d, v1
	v_lshl_add_u32 v1, v1, 9, 0xaccf6200
	s_delay_alu instid0(VALU_DEP_1) | instskip(NEXT) | instid1(VALU_DEP_1)
	v_xor_b32_e32 v1, v3, v1
	v_lshlrev_b32_e32 v3, 3, v1
	s_delay_alu instid0(VALU_DEP_1) | instskip(NEXT) | instid1(VALU_DEP_1)
	v_add3_u32 v1, v1, v3, 0xfd7046c5
	v_lshrrev_b32_e32 v3, 16, v1
	s_delay_alu instid0(VALU_DEP_1) | instskip(NEXT) | instid1(VALU_DEP_1)
	v_xor3_b32 v1, v1, v3, 0xb55a4f09
	v_mul_hi_u32 v3, v1, 3
	s_delay_alu instid0(VALU_DEP_1) | instskip(NEXT) | instid1(VALU_DEP_1)
	v_sub_nc_u32_e32 v4, v1, v3
	v_lshrrev_b32_e32 v4, 1, v4
	s_delay_alu instid0(VALU_DEP_1) | instskip(NEXT) | instid1(VALU_DEP_1)
	v_add_nc_u32_e32 v3, v4, v3
	v_lshrrev_b32_e32 v3, 30, v3
	s_delay_alu instid0(VALU_DEP_1) | instskip(NEXT) | instid1(VALU_DEP_1)
	v_mul_lo_u32 v3, 0x7fffffff, v3
	v_sub_nc_u32_e32 v1, v1, v3
	s_delay_alu instid0(VALU_DEP_1)
	v_max_u32_e32 v1, 1, v1
.LBB27_258:                             ; =>This Inner Loop Header: Depth=1
	s_delay_alu instid0(VALU_DEP_1) | instskip(SKIP_1) | instid1(VALU_DEP_2)
	v_mul_hi_u32 v3, 0xbc8f1391, v1
	s_add_co_i32 s6, s6, -2
	v_add_f32_e32 v8, 1.0, v2
	s_cmp_lg_u32 s6, 0
	s_delay_alu instid0(VALU_DEP_2) | instskip(NEXT) | instid1(VALU_DEP_1)
	v_lshrrev_b32_e32 v3, 15, v3
	v_mul_u32_u24_e32 v4, 0xadc8, v3
	s_delay_alu instid0(VALU_DEP_1) | instskip(SKIP_1) | instid1(VALU_DEP_2)
	v_sub_nc_u32_e32 v1, v1, v4
	v_mul_u32_u24_e32 v3, 0xd47, v3
	v_mul_lo_u32 v1, 0xbc8f, v1
	s_delay_alu instid0(VALU_DEP_2) | instskip(SKIP_1) | instid1(VALU_DEP_3)
	v_xor_b32_e32 v4, 0x7fffffff, v3
	v_sub_nc_u32_e32 v5, 0, v3
	v_cmp_lt_u32_e32 vcc_lo, v1, v3
	s_delay_alu instid0(VALU_DEP_2) | instskip(NEXT) | instid1(VALU_DEP_1)
	v_cndmask_b32_e32 v3, v5, v4, vcc_lo
	v_add_nc_u32_e32 v1, v3, v1
	s_delay_alu instid0(VALU_DEP_1) | instskip(NEXT) | instid1(VALU_DEP_1)
	v_mul_hi_u32 v3, 0xbc8f1391, v1
	v_lshrrev_b32_e32 v3, 15, v3
	s_delay_alu instid0(VALU_DEP_1) | instskip(NEXT) | instid1(VALU_DEP_1)
	v_mul_u32_u24_e32 v4, 0xadc8, v3
	v_sub_nc_u32_e32 v4, v1, v4
	v_mul_u32_u24_e32 v3, 0xd47, v3
	s_delay_alu instid0(VALU_DEP_2) | instskip(NEXT) | instid1(VALU_DEP_2)
	v_mul_lo_u32 v4, 0xbc8f, v4
	v_xor_b32_e32 v5, 0x7fffffff, v3
	v_sub_nc_u32_e32 v6, 0, v3
	s_delay_alu instid0(VALU_DEP_3) | instskip(NEXT) | instid1(VALU_DEP_2)
	v_cmp_lt_u32_e32 vcc_lo, v4, v3
	v_cndmask_b32_e32 v3, v6, v5, vcc_lo
	s_delay_alu instid0(VALU_DEP_1) | instskip(NEXT) | instid1(VALU_DEP_1)
	v_dual_add_nc_u32 v3, v3, v4 :: v_dual_add_nc_u32 v1, -1, v1
	v_mul_hi_u32 v4, 0xbc8f1391, v3
	s_delay_alu instid0(VALU_DEP_1) | instskip(NEXT) | instid1(VALU_DEP_1)
	v_lshrrev_b32_e32 v4, 15, v4
	v_mul_u32_u24_e32 v5, 0xadc8, v4
	v_mul_u32_u24_e32 v4, 0xd47, v4
	s_delay_alu instid0(VALU_DEP_2) | instskip(NEXT) | instid1(VALU_DEP_2)
	v_sub_nc_u32_e32 v5, v3, v5
	v_xor_b32_e32 v6, 0x7fffffff, v4
	v_dual_sub_nc_u32 v7, 0, v4 :: v_dual_add_nc_u32 v3, -1, v3
	s_delay_alu instid0(VALU_DEP_3) | instskip(NEXT) | instid1(VALU_DEP_1)
	v_mul_lo_u32 v5, 0xbc8f, v5
	v_cmp_lt_u32_e32 vcc_lo, v5, v4
	s_delay_alu instid0(VALU_DEP_3) | instskip(NEXT) | instid1(VALU_DEP_1)
	v_cndmask_b32_e32 v4, v7, v6, vcc_lo
	v_add_nc_u32_e32 v6, v4, v5
	s_delay_alu instid0(VALU_DEP_1) | instskip(NEXT) | instid1(VALU_DEP_1)
	v_mul_hi_u32 v4, 0xbc8f1391, v6
	v_lshrrev_b32_e32 v4, 15, v4
	s_delay_alu instid0(VALU_DEP_1) | instskip(NEXT) | instid1(VALU_DEP_1)
	v_mul_u32_u24_e32 v5, 0xadc8, v4
	v_sub_nc_u32_e32 v5, v6, v5
	s_delay_alu instid0(VALU_DEP_1) | instskip(SKIP_2) | instid1(VALU_DEP_2)
	v_mul_lo_u32 v7, 0xbc8f, v5
	v_mul_u32_u24_e32 v5, 0xd47, v4
	v_cvt_f32_u32_e32 v4, v1
	v_xor_b32_e32 v1, 0x7fffffff, v5
	v_sub_nc_u32_e32 v9, 0, v5
	v_cmp_lt_u32_e32 vcc_lo, v7, v5
	v_cvt_f32_u32_e32 v5, v3
	s_delay_alu instid0(VALU_DEP_3) | instskip(NEXT) | instid1(VALU_DEP_2)
	v_dual_add_nc_u32 v3, -1, v6 :: v_dual_cndmask_b32 v1, v9, v1, vcc_lo
	v_pk_fma_f32 v[4:5], v[4:5], s[4:5], 0 op_sel_hi:[1,0,0]
	s_delay_alu instid0(VALU_DEP_2) | instskip(NEXT) | instid1(VALU_DEP_3)
	v_cvt_f32_u32_e32 v6, v3
	v_add_nc_u32_e32 v1, v1, v7
	s_delay_alu instid0(VALU_DEP_3) | instskip(NEXT) | instid1(VALU_DEP_1)
	v_pk_mul_f32 v[4:5], v[4:5], v[4:5]
	v_add_f32_e32 v3, v4, v5
	s_delay_alu instid0(VALU_DEP_3) | instskip(NEXT) | instid1(VALU_DEP_1)
	v_add_nc_u32_e32 v7, -1, v1
	v_cvt_f32_u32_e32 v7, v7
	s_delay_alu instid0(VALU_DEP_1) | instskip(NEXT) | instid1(VALU_DEP_1)
	v_pk_fma_f32 v[4:5], v[6:7], s[4:5], 0 op_sel_hi:[1,0,0]
	v_pk_mul_f32 v[4:5], v[4:5], v[4:5]
	s_delay_alu instid0(VALU_DEP_1) | instskip(SKIP_2) | instid1(VALU_DEP_3)
	v_add_f32_e32 v4, v4, v5
	v_mul_f32_e32 v6, 0x4f800000, v3
	v_cmp_gt_f32_e32 vcc_lo, 0xf800000, v3
	v_cmp_gt_f32_e64 s2, 0xf800000, v4
	s_delay_alu instid0(VALU_DEP_3) | instskip(NEXT) | instid1(VALU_DEP_1)
	v_dual_cndmask_b32 v3, v3, v6 :: v_dual_mul_f32 v6, 0x4f800000, v4
	v_sqrt_f32_e32 v5, v3
	s_delay_alu instid0(VALU_DEP_1) | instskip(NEXT) | instid1(VALU_DEP_1)
	v_cndmask_b32_e64 v4, v4, v6, s2
	v_sqrt_f32_e32 v10, v4
	s_delay_alu instid0(TRANS32_DEP_2) | instskip(NEXT) | instid1(VALU_DEP_1)
	v_dual_add_nc_u32 v7, -1, v5 :: v_dual_add_nc_u32 v6, 1, v5
	v_fma_f32 v9, -v7, v5, v3
	s_delay_alu instid0(VALU_DEP_1) | instskip(NEXT) | instid1(VALU_DEP_1)
	v_cmp_ge_f32_e64 s3, 0, v9
	v_dual_fma_f32 v11, -v6, v5, v3 :: v_dual_cndmask_b32 v5, v5, v7, s3
	s_delay_alu instid0(VALU_DEP_1) | instskip(NEXT) | instid1(TRANS32_DEP_1)
	v_cmp_lt_f32_e64 s3, 0, v11
	v_add_nc_u32_e32 v7, -1, v10
	s_delay_alu instid0(VALU_DEP_2) | instskip(NEXT) | instid1(VALU_DEP_2)
	v_cndmask_b32_e64 v5, v5, v6, s3
	v_dual_add_nc_u32 v6, 1, v10 :: v_dual_fma_f32 v9, -v7, v10, v4
	s_delay_alu instid0(VALU_DEP_1) | instskip(NEXT) | instid1(VALU_DEP_2)
	v_fma_f32 v12, -v6, v10, v4
	v_cmp_ge_f32_e64 s3, 0, v9
	s_delay_alu instid0(VALU_DEP_1) | instskip(SKIP_1) | instid1(VALU_DEP_4)
	v_cndmask_b32_e64 v7, v10, v7, s3
	v_mul_f32_e32 v11, 0x37800000, v5
	v_cmp_lt_f32_e64 s3, 0, v12
	s_delay_alu instid0(VALU_DEP_1) | instskip(SKIP_1) | instid1(VALU_DEP_2)
	v_dual_cndmask_b32 v5, v5, v11, vcc_lo :: v_dual_cndmask_b32 v6, v7, v6, s3
	v_cmp_class_f32_e64 vcc_lo, v3, 0x260
	v_cndmask_b32_e32 v3, v5, v3, vcc_lo
	s_delay_alu instid0(VALU_DEP_3) | instskip(NEXT) | instid1(VALU_DEP_2)
	v_mul_f32_e32 v5, 0x37800000, v6
	v_cmp_nge_f32_e32 vcc_lo, 1.0, v3
	s_delay_alu instid0(VALU_DEP_2) | instskip(SKIP_1) | instid1(VALU_DEP_1)
	v_dual_cndmask_b32 v2, v8, v2, vcc_lo :: v_dual_cndmask_b32 v3, v6, v5, s2
	v_cmp_class_f32_e64 vcc_lo, v4, 0x260
	v_dual_add_f32 v5, 1.0, v2 :: v_dual_cndmask_b32 v3, v3, v4, vcc_lo
	s_delay_alu instid0(VALU_DEP_1) | instskip(NEXT) | instid1(VALU_DEP_2)
	v_cmp_nge_f32_e32 vcc_lo, 1.0, v3
	v_cndmask_b32_e32 v2, v5, v2, vcc_lo
	s_cbranch_scc1 .LBB27_258
; %bb.259:
	s_delay_alu instid0(VALU_DEP_1) | instskip(NEXT) | instid1(VALU_DEP_1)
	v_mul_f32_e32 v2, 4.0, v2
	v_div_scale_f32 v1, null, 0x461c4000, 0x461c4000, v2
	s_delay_alu instid0(VALU_DEP_1) | instskip(SKIP_1) | instid1(TRANS32_DEP_1)
	v_rcp_f32_e32 v3, v1
	v_nop
	v_fma_f32 v4, -v1, v3, 1.0
	s_delay_alu instid0(VALU_DEP_1) | instskip(SKIP_1) | instid1(VALU_DEP_1)
	v_fmac_f32_e32 v3, v4, v3
	v_div_scale_f32 v5, vcc_lo, v2, 0x461c4000, v2
	v_mul_f32_e32 v4, v5, v3
	s_delay_alu instid0(VALU_DEP_1) | instskip(NEXT) | instid1(VALU_DEP_1)
	v_fma_f32 v6, -v1, v4, v5
	v_fmac_f32_e32 v4, v6, v3
	s_delay_alu instid0(VALU_DEP_1) | instskip(NEXT) | instid1(VALU_DEP_1)
	v_dual_fma_f32 v5, -v1, v4, v5 :: v_dual_mov_b32 v1, 0
	v_div_fmas_f32 v5, v5, v3, v4
	s_delay_alu instid0(VALU_DEP_2) | instskip(SKIP_1) | instid1(VALU_DEP_3)
	v_dual_mov_b32 v4, v1 :: v_dual_mov_b32 v6, v1
	v_dual_mov_b32 v3, v1 :: v_dual_mov_b32 v8, v1
	v_div_fixup_f32 v2, v5, 0x461c4000, v2
	v_dual_mov_b32 v5, v1 :: v_dual_mov_b32 v7, v1
	v_dual_mov_b32 v10, v1 :: v_dual_mov_b32 v9, v1
	;; [unrolled: 1-line block ×5, first 2 shown]
.LBB27_260:
	s_or_b32 exec_lo, exec_lo, s5
	v_or_b32_e32 v17, 0x100, v0
	s_delay_alu instid0(VALU_DEP_1)
	v_cmp_gt_u32_e64 s2, s21, v17
	s_and_saveexec_b32 s5, s2
	s_cbranch_execz .LBB27_264
; %bb.261:
	v_add_nc_u32_e32 v1, s19, v17
	s_movk_i32 s7, 0x2710
	s_brev_b32 s6, 12
	s_delay_alu instid0(VALU_DEP_1) | instskip(NEXT) | instid1(VALU_DEP_1)
	v_lshlrev_b32_e32 v17, 12, v1
	v_add3_u32 v1, v1, v17, 0x7ed55d16
	s_delay_alu instid0(VALU_DEP_1) | instskip(NEXT) | instid1(VALU_DEP_1)
	v_lshrrev_b32_e32 v17, 19, v1
	v_xor3_b32 v1, v1, v17, 0xc761c23c
	s_delay_alu instid0(VALU_DEP_1) | instskip(NEXT) | instid1(VALU_DEP_1)
	v_lshl_add_u32 v1, v1, 5, v1
	v_add_nc_u32_e32 v17, 0xe9f8cc1d, v1
	v_lshl_add_u32 v1, v1, 9, 0xaccf6200
	s_delay_alu instid0(VALU_DEP_1) | instskip(NEXT) | instid1(VALU_DEP_1)
	v_xor_b32_e32 v1, v17, v1
	v_lshlrev_b32_e32 v17, 3, v1
	s_delay_alu instid0(VALU_DEP_1) | instskip(NEXT) | instid1(VALU_DEP_1)
	v_add3_u32 v1, v1, v17, 0xfd7046c5
	v_lshrrev_b32_e32 v17, 16, v1
	s_delay_alu instid0(VALU_DEP_1) | instskip(NEXT) | instid1(VALU_DEP_1)
	v_xor3_b32 v1, v1, v17, 0xb55a4f09
	v_mul_hi_u32 v17, v1, 3
	s_delay_alu instid0(VALU_DEP_1) | instskip(NEXT) | instid1(VALU_DEP_1)
	v_sub_nc_u32_e32 v18, v1, v17
	v_lshrrev_b32_e32 v18, 1, v18
	s_delay_alu instid0(VALU_DEP_1) | instskip(NEXT) | instid1(VALU_DEP_1)
	v_add_nc_u32_e32 v17, v18, v17
	v_lshrrev_b32_e32 v17, 30, v17
	s_delay_alu instid0(VALU_DEP_1) | instskip(NEXT) | instid1(VALU_DEP_1)
	v_mul_lo_u32 v17, 0x7fffffff, v17
	v_sub_nc_u32_e32 v1, v1, v17
	s_delay_alu instid0(VALU_DEP_1)
	v_max_u32_e32 v17, 1, v1
	v_mov_b32_e32 v1, 0
.LBB27_262:                             ; =>This Inner Loop Header: Depth=1
	s_delay_alu instid0(VALU_DEP_2) | instskip(NEXT) | instid1(VALU_DEP_1)
	v_mul_hi_u32 v18, 0xbc8f1391, v17
	v_lshrrev_b32_e32 v18, 15, v18
	s_delay_alu instid0(VALU_DEP_1) | instskip(NEXT) | instid1(VALU_DEP_1)
	v_mul_u32_u24_e32 v19, 0xadc8, v18
	v_sub_nc_u32_e32 v17, v17, v19
	v_mul_u32_u24_e32 v18, 0xd47, v18
	s_delay_alu instid0(VALU_DEP_2) | instskip(NEXT) | instid1(VALU_DEP_2)
	v_mul_lo_u32 v17, 0xbc8f, v17
	v_xor_b32_e32 v19, 0x7fffffff, v18
	v_sub_nc_u32_e32 v20, 0, v18
	s_delay_alu instid0(VALU_DEP_3) | instskip(NEXT) | instid1(VALU_DEP_2)
	v_cmp_lt_u32_e32 vcc_lo, v17, v18
	v_cndmask_b32_e32 v18, v20, v19, vcc_lo
	s_delay_alu instid0(VALU_DEP_1) | instskip(NEXT) | instid1(VALU_DEP_1)
	v_add_nc_u32_e32 v17, v18, v17
	v_mul_hi_u32 v18, 0xbc8f1391, v17
	s_delay_alu instid0(VALU_DEP_1) | instskip(NEXT) | instid1(VALU_DEP_1)
	v_lshrrev_b32_e32 v18, 15, v18
	v_mul_u32_u24_e32 v19, 0xadc8, v18
	v_mul_u32_u24_e32 v18, 0xd47, v18
	s_delay_alu instid0(VALU_DEP_2) | instskip(NEXT) | instid1(VALU_DEP_2)
	v_sub_nc_u32_e32 v19, v17, v19
	v_xor_b32_e32 v20, 0x7fffffff, v18
	v_add_nc_u32_e32 v17, -1, v17
	s_delay_alu instid0(VALU_DEP_3) | instskip(SKIP_1) | instid1(VALU_DEP_2)
	v_mul_lo_u32 v19, 0xbc8f, v19
	v_sub_nc_u32_e32 v21, 0, v18
	v_cmp_lt_u32_e32 vcc_lo, v19, v18
	s_delay_alu instid0(VALU_DEP_2) | instskip(NEXT) | instid1(VALU_DEP_1)
	v_cndmask_b32_e32 v18, v21, v20, vcc_lo
	v_add_nc_u32_e32 v19, v18, v19
	s_delay_alu instid0(VALU_DEP_1) | instskip(NEXT) | instid1(VALU_DEP_1)
	v_mul_hi_u32 v18, 0xbc8f1391, v19
	v_lshrrev_b32_e32 v18, 15, v18
	s_delay_alu instid0(VALU_DEP_1) | instskip(SKIP_1) | instid1(VALU_DEP_2)
	v_mul_u32_u24_e32 v20, 0xadc8, v18
	v_mul_u32_u24_e32 v18, 0xd47, v18
	v_sub_nc_u32_e32 v20, v19, v20
	s_delay_alu instid0(VALU_DEP_2) | instskip(NEXT) | instid1(VALU_DEP_2)
	v_xor_b32_e32 v21, 0x7fffffff, v18
	v_mul_lo_u32 v20, 0xbc8f, v20
	v_sub_nc_u32_e32 v22, 0, v18
	s_delay_alu instid0(VALU_DEP_2) | instskip(NEXT) | instid1(VALU_DEP_2)
	v_cmp_lt_u32_e32 vcc_lo, v20, v18
	v_cndmask_b32_e32 v18, v22, v21, vcc_lo
	s_delay_alu instid0(VALU_DEP_1) | instskip(NEXT) | instid1(VALU_DEP_1)
	v_dual_add_f32 v22, 1.0, v1 :: v_dual_add_nc_u32 v20, v18, v20
	v_mul_hi_u32 v18, 0xbc8f1391, v20
	s_delay_alu instid0(VALU_DEP_1) | instskip(NEXT) | instid1(VALU_DEP_1)
	v_lshrrev_b32_e32 v18, 15, v18
	v_mul_u32_u24_e32 v21, 0xadc8, v18
	v_mul_u32_u24_e32 v23, 0xd47, v18
	v_cvt_f32_u32_e32 v18, v17
	s_delay_alu instid0(VALU_DEP_3) | instskip(NEXT) | instid1(VALU_DEP_3)
	v_sub_nc_u32_e32 v21, v20, v21
	v_xor_b32_e32 v17, 0x7fffffff, v23
	v_dual_sub_nc_u32 v24, 0, v23 :: v_dual_add_nc_u32 v20, -1, v20
	s_delay_alu instid0(VALU_DEP_3) | instskip(NEXT) | instid1(VALU_DEP_2)
	v_mul_lo_u32 v21, 0xbc8f, v21
	v_cvt_f32_u32_e32 v20, v20
	s_delay_alu instid0(VALU_DEP_2) | instskip(NEXT) | instid1(VALU_DEP_4)
	v_cmp_lt_u32_e32 vcc_lo, v21, v23
	v_dual_add_nc_u32 v19, -1, v19 :: v_dual_cndmask_b32 v17, v24, v17, vcc_lo
	s_delay_alu instid0(VALU_DEP_1) | instskip(NEXT) | instid1(VALU_DEP_2)
	v_cvt_f32_u32_e32 v19, v19
	v_add_nc_u32_e32 v17, v17, v21
	s_delay_alu instid0(VALU_DEP_2) | instskip(NEXT) | instid1(VALU_DEP_1)
	v_pk_fma_f32 v[18:19], v[18:19], s[6:7], 0 op_sel_hi:[1,0,0]
	v_pk_mul_f32 v[18:19], v[18:19], v[18:19]
	s_delay_alu instid0(VALU_DEP_1) | instskip(NEXT) | instid1(VALU_DEP_1)
	v_dual_add_nc_u32 v21, -1, v17 :: v_dual_add_f32 v23, v18, v19
	v_cvt_f32_u32_e32 v21, v21
	s_delay_alu instid0(VALU_DEP_2) | instskip(NEXT) | instid1(VALU_DEP_2)
	v_cmp_gt_f32_e32 vcc_lo, 0xf800000, v23
	v_pk_fma_f32 v[18:19], v[20:21], s[6:7], 0 op_sel_hi:[1,0,0]
	s_add_co_i32 s7, s7, -2
	s_delay_alu instid0(SALU_CYCLE_1) | instskip(NEXT) | instid1(VALU_DEP_1)
	s_cmp_lg_u32 s7, 0
	v_pk_mul_f32 v[18:19], v[18:19], v[18:19]
	s_delay_alu instid0(VALU_DEP_1) | instskip(NEXT) | instid1(VALU_DEP_1)
	v_add_f32_e32 v18, v18, v19
	v_dual_mul_f32 v20, 0x4f800000, v23 :: v_dual_mul_f32 v21, 0x4f800000, v18
	s_delay_alu instid0(VALU_DEP_1) | instskip(SKIP_1) | instid1(VALU_DEP_2)
	v_cndmask_b32_e32 v20, v23, v20, vcc_lo
	v_cmp_gt_f32_e64 s3, 0xf800000, v18
	v_sqrt_f32_e32 v19, v20
	v_nop
	s_delay_alu instid0(TRANS32_DEP_1) | instskip(NEXT) | instid1(VALU_DEP_1)
	v_dual_add_nc_u32 v23, -1, v19 :: v_dual_cndmask_b32 v18, v18, v21, s3
	v_dual_add_nc_u32 v21, 1, v19 :: v_dual_fma_f32 v24, -v23, v19, v20
	s_delay_alu instid0(VALU_DEP_2) | instskip(NEXT) | instid1(VALU_DEP_1)
	v_sqrt_f32_e32 v25, v18
	v_fma_f32 v26, -v21, v19, v20
	s_delay_alu instid0(VALU_DEP_2)
	v_cmp_ge_f32_e64 s4, 0, v24
	s_delay_alu instid0(TRANS32_DEP_1) | instid1(VALU_DEP_1)
	v_dual_cndmask_b32 v19, v19, v23, s4 :: v_dual_add_nc_u32 v23, -1, v25
	s_delay_alu instid0(VALU_DEP_3) | instskip(NEXT) | instid1(VALU_DEP_1)
	v_cmp_lt_f32_e64 s4, 0, v26
	v_cndmask_b32_e64 v19, v19, v21, s4
	s_delay_alu instid0(VALU_DEP_3) | instskip(NEXT) | instid1(VALU_DEP_1)
	v_dual_add_nc_u32 v21, 1, v25 :: v_dual_fma_f32 v24, -v23, v25, v18
	v_fma_f32 v27, -v21, v25, v18
	s_delay_alu instid0(VALU_DEP_2) | instskip(NEXT) | instid1(VALU_DEP_1)
	v_cmp_ge_f32_e64 s4, 0, v24
	v_cndmask_b32_e64 v23, v25, v23, s4
	v_mul_f32_e32 v26, 0x37800000, v19
	s_delay_alu instid0(VALU_DEP_4) | instskip(NEXT) | instid1(VALU_DEP_1)
	v_cmp_lt_f32_e64 s4, 0, v27
	v_cndmask_b32_e64 v21, v23, v21, s4
	s_delay_alu instid0(VALU_DEP_3) | instskip(SKIP_1) | instid1(VALU_DEP_2)
	v_cndmask_b32_e32 v19, v19, v26, vcc_lo
	v_cmp_class_f32_e64 vcc_lo, v20, 0x260
	v_dual_cndmask_b32 v19, v19, v20 :: v_dual_mul_f32 v20, 0x37800000, v21
	s_delay_alu instid0(VALU_DEP_1) | instskip(NEXT) | instid1(VALU_DEP_2)
	v_cmp_nge_f32_e32 vcc_lo, 1.0, v19
	v_dual_cndmask_b32 v19, v21, v20, s3 :: v_dual_cndmask_b32 v1, v22, v1, vcc_lo
	v_cmp_class_f32_e64 vcc_lo, v18, 0x260
	s_delay_alu instid0(VALU_DEP_1) | instskip(NEXT) | instid1(VALU_DEP_1)
	v_dual_add_f32 v20, 1.0, v1 :: v_dual_cndmask_b32 v18, v19, v18, vcc_lo
	v_cmp_nge_f32_e32 vcc_lo, 1.0, v18
	s_delay_alu instid0(VALU_DEP_2)
	v_cndmask_b32_e32 v1, v20, v1, vcc_lo
	s_cbranch_scc1 .LBB27_262
; %bb.263:
	s_delay_alu instid0(VALU_DEP_1) | instskip(NEXT) | instid1(VALU_DEP_1)
	v_mul_f32_e32 v1, 4.0, v1
	v_div_scale_f32 v17, null, 0x461c4000, 0x461c4000, v1
	s_delay_alu instid0(VALU_DEP_1) | instskip(SKIP_1) | instid1(TRANS32_DEP_1)
	v_rcp_f32_e32 v18, v17
	v_nop
	v_fma_f32 v19, -v17, v18, 1.0
	s_delay_alu instid0(VALU_DEP_1) | instskip(SKIP_1) | instid1(VALU_DEP_1)
	v_fmac_f32_e32 v18, v19, v18
	v_div_scale_f32 v19, vcc_lo, v1, 0x461c4000, v1
	v_mul_f32_e32 v20, v19, v18
	s_delay_alu instid0(VALU_DEP_1) | instskip(NEXT) | instid1(VALU_DEP_1)
	v_fma_f32 v21, -v17, v20, v19
	v_fmac_f32_e32 v20, v21, v18
	s_delay_alu instid0(VALU_DEP_1) | instskip(NEXT) | instid1(VALU_DEP_1)
	v_fma_f32 v17, -v17, v20, v19
	v_div_fmas_f32 v17, v17, v18, v20
	s_delay_alu instid0(VALU_DEP_1)
	v_div_fixup_f32 v1, v17, 0x461c4000, v1
.LBB27_264:
	s_or_b32 exec_lo, exec_lo, s5
	v_or_b32_e32 v17, 0x200, v0
	s_delay_alu instid0(VALU_DEP_1)
	v_cmp_gt_u32_e64 s3, s21, v17
	s_and_saveexec_b32 s7, s3
	s_cbranch_execz .LBB27_268
; %bb.265:
	v_add_nc_u32_e32 v4, s19, v17
	s_movk_i32 s8, 0x2710
	s_brev_b32 s6, 12
	s_delay_alu instid0(VALU_DEP_1) | instskip(NEXT) | instid1(VALU_DEP_1)
	v_lshlrev_b32_e32 v17, 12, v4
	v_add3_u32 v4, v4, v17, 0x7ed55d16
	s_delay_alu instid0(VALU_DEP_1) | instskip(NEXT) | instid1(VALU_DEP_1)
	v_lshrrev_b32_e32 v17, 19, v4
	v_xor3_b32 v4, v4, v17, 0xc761c23c
	s_delay_alu instid0(VALU_DEP_1) | instskip(NEXT) | instid1(VALU_DEP_1)
	v_lshl_add_u32 v4, v4, 5, v4
	v_add_nc_u32_e32 v17, 0xe9f8cc1d, v4
	v_lshl_add_u32 v4, v4, 9, 0xaccf6200
	s_delay_alu instid0(VALU_DEP_1) | instskip(NEXT) | instid1(VALU_DEP_1)
	v_xor_b32_e32 v4, v17, v4
	v_lshlrev_b32_e32 v17, 3, v4
	s_delay_alu instid0(VALU_DEP_1) | instskip(NEXT) | instid1(VALU_DEP_1)
	v_add3_u32 v4, v4, v17, 0xfd7046c5
	v_lshrrev_b32_e32 v17, 16, v4
	s_delay_alu instid0(VALU_DEP_1) | instskip(NEXT) | instid1(VALU_DEP_1)
	v_xor3_b32 v4, v4, v17, 0xb55a4f09
	v_mul_hi_u32 v17, v4, 3
	s_delay_alu instid0(VALU_DEP_1) | instskip(NEXT) | instid1(VALU_DEP_1)
	v_sub_nc_u32_e32 v18, v4, v17
	v_lshrrev_b32_e32 v18, 1, v18
	s_delay_alu instid0(VALU_DEP_1) | instskip(NEXT) | instid1(VALU_DEP_1)
	v_add_nc_u32_e32 v17, v18, v17
	v_lshrrev_b32_e32 v17, 30, v17
	s_delay_alu instid0(VALU_DEP_1) | instskip(NEXT) | instid1(VALU_DEP_1)
	v_mul_lo_u32 v17, 0x7fffffff, v17
	v_sub_nc_u32_e32 v4, v4, v17
	s_delay_alu instid0(VALU_DEP_1)
	v_max_u32_e32 v17, 1, v4
	v_mov_b32_e32 v4, 0
.LBB27_266:                             ; =>This Inner Loop Header: Depth=1
	s_delay_alu instid0(VALU_DEP_2) | instskip(SKIP_1) | instid1(SALU_CYCLE_1)
	v_mul_hi_u32 v18, 0xbc8f1391, v17
	s_add_co_i32 s8, s8, -2
	s_cmp_lg_u32 s8, 0
	s_delay_alu instid0(VALU_DEP_1) | instskip(NEXT) | instid1(VALU_DEP_1)
	v_lshrrev_b32_e32 v18, 15, v18
	v_mul_u32_u24_e32 v19, 0xadc8, v18
	s_delay_alu instid0(VALU_DEP_1) | instskip(SKIP_1) | instid1(VALU_DEP_2)
	v_sub_nc_u32_e32 v17, v17, v19
	v_mul_u32_u24_e32 v18, 0xd47, v18
	v_mul_lo_u32 v17, 0xbc8f, v17
	s_delay_alu instid0(VALU_DEP_2) | instskip(SKIP_1) | instid1(VALU_DEP_3)
	v_xor_b32_e32 v19, 0x7fffffff, v18
	v_sub_nc_u32_e32 v20, 0, v18
	v_cmp_lt_u32_e32 vcc_lo, v17, v18
	s_delay_alu instid0(VALU_DEP_2) | instskip(NEXT) | instid1(VALU_DEP_1)
	v_cndmask_b32_e32 v18, v20, v19, vcc_lo
	v_add_nc_u32_e32 v17, v18, v17
	s_delay_alu instid0(VALU_DEP_1) | instskip(NEXT) | instid1(VALU_DEP_1)
	v_mul_hi_u32 v18, 0xbc8f1391, v17
	v_lshrrev_b32_e32 v18, 15, v18
	s_delay_alu instid0(VALU_DEP_1) | instskip(SKIP_1) | instid1(VALU_DEP_2)
	v_mul_u32_u24_e32 v19, 0xadc8, v18
	v_mul_u32_u24_e32 v18, 0xd47, v18
	v_sub_nc_u32_e32 v19, v17, v19
	s_delay_alu instid0(VALU_DEP_2) | instskip(SKIP_1) | instid1(VALU_DEP_3)
	v_xor_b32_e32 v20, 0x7fffffff, v18
	v_add_nc_u32_e32 v17, -1, v17
	v_mul_lo_u32 v19, 0xbc8f, v19
	v_sub_nc_u32_e32 v21, 0, v18
	s_delay_alu instid0(VALU_DEP_2) | instskip(NEXT) | instid1(VALU_DEP_2)
	v_cmp_lt_u32_e32 vcc_lo, v19, v18
	v_cndmask_b32_e32 v18, v21, v20, vcc_lo
	s_delay_alu instid0(VALU_DEP_1) | instskip(NEXT) | instid1(VALU_DEP_1)
	v_add_nc_u32_e32 v19, v18, v19
	v_mul_hi_u32 v18, 0xbc8f1391, v19
	s_delay_alu instid0(VALU_DEP_1) | instskip(NEXT) | instid1(VALU_DEP_1)
	v_lshrrev_b32_e32 v18, 15, v18
	v_mul_u32_u24_e32 v20, 0xadc8, v18
	v_mul_u32_u24_e32 v18, 0xd47, v18
	s_delay_alu instid0(VALU_DEP_2) | instskip(NEXT) | instid1(VALU_DEP_2)
	v_sub_nc_u32_e32 v20, v19, v20
	v_xor_b32_e32 v21, 0x7fffffff, v18
	s_delay_alu instid0(VALU_DEP_2) | instskip(SKIP_1) | instid1(VALU_DEP_2)
	v_mul_lo_u32 v20, 0xbc8f, v20
	v_sub_nc_u32_e32 v22, 0, v18
	v_cmp_lt_u32_e32 vcc_lo, v20, v18
	s_delay_alu instid0(VALU_DEP_2) | instskip(NEXT) | instid1(VALU_DEP_1)
	v_dual_cndmask_b32 v18, v22, v21, vcc_lo :: v_dual_add_f32 v22, 1.0, v4
	v_add_nc_u32_e32 v20, v18, v20
	s_delay_alu instid0(VALU_DEP_1) | instskip(NEXT) | instid1(VALU_DEP_1)
	v_mul_hi_u32 v18, 0xbc8f1391, v20
	v_lshrrev_b32_e32 v18, 15, v18
	s_delay_alu instid0(VALU_DEP_1) | instskip(SKIP_2) | instid1(VALU_DEP_3)
	v_mul_u32_u24_e32 v21, 0xadc8, v18
	v_mul_u32_u24_e32 v23, 0xd47, v18
	v_cvt_f32_u32_e32 v18, v17
	v_sub_nc_u32_e32 v21, v20, v21
	s_delay_alu instid0(VALU_DEP_3) | instskip(SKIP_1) | instid1(VALU_DEP_3)
	v_xor_b32_e32 v17, 0x7fffffff, v23
	v_dual_sub_nc_u32 v24, 0, v23 :: v_dual_add_nc_u32 v20, -1, v20
	v_mul_lo_u32 v21, 0xbc8f, v21
	s_delay_alu instid0(VALU_DEP_2) | instskip(NEXT) | instid1(VALU_DEP_2)
	v_cvt_f32_u32_e32 v20, v20
	v_cmp_lt_u32_e32 vcc_lo, v21, v23
	s_delay_alu instid0(VALU_DEP_4) | instskip(NEXT) | instid1(VALU_DEP_1)
	v_dual_add_nc_u32 v19, -1, v19 :: v_dual_cndmask_b32 v17, v24, v17, vcc_lo
	v_cvt_f32_u32_e32 v19, v19
	s_delay_alu instid0(VALU_DEP_2) | instskip(NEXT) | instid1(VALU_DEP_2)
	v_add_nc_u32_e32 v17, v17, v21
	v_pk_fma_f32 v[18:19], v[18:19], s[6:7], 0 op_sel_hi:[1,0,0]
	s_delay_alu instid0(VALU_DEP_1) | instskip(NEXT) | instid1(VALU_DEP_1)
	v_pk_mul_f32 v[18:19], v[18:19], v[18:19]
	v_dual_add_nc_u32 v21, -1, v17 :: v_dual_add_f32 v23, v18, v19
	s_delay_alu instid0(VALU_DEP_1) | instskip(NEXT) | instid1(VALU_DEP_2)
	v_cvt_f32_u32_e32 v21, v21
	v_cmp_gt_f32_e32 vcc_lo, 0xf800000, v23
	s_delay_alu instid0(VALU_DEP_2) | instskip(NEXT) | instid1(VALU_DEP_1)
	v_pk_fma_f32 v[18:19], v[20:21], s[6:7], 0 op_sel_hi:[1,0,0]
	v_pk_mul_f32 v[18:19], v[18:19], v[18:19]
	s_delay_alu instid0(VALU_DEP_1) | instskip(NEXT) | instid1(VALU_DEP_1)
	v_add_f32_e32 v18, v18, v19
	v_dual_mul_f32 v20, 0x4f800000, v23 :: v_dual_mul_f32 v21, 0x4f800000, v18
	s_delay_alu instid0(VALU_DEP_1) | instskip(SKIP_1) | instid1(VALU_DEP_2)
	v_cndmask_b32_e32 v20, v23, v20, vcc_lo
	v_cmp_gt_f32_e64 s4, 0xf800000, v18
	v_sqrt_f32_e32 v19, v20
	v_nop
	s_delay_alu instid0(TRANS32_DEP_1) | instskip(NEXT) | instid1(VALU_DEP_1)
	v_dual_add_nc_u32 v23, -1, v19 :: v_dual_cndmask_b32 v18, v18, v21, s4
	v_dual_add_nc_u32 v21, 1, v19 :: v_dual_fma_f32 v24, -v23, v19, v20
	s_delay_alu instid0(VALU_DEP_2) | instskip(NEXT) | instid1(VALU_DEP_1)
	v_sqrt_f32_e32 v25, v18
	v_fma_f32 v26, -v21, v19, v20
	s_delay_alu instid0(VALU_DEP_2)
	v_cmp_ge_f32_e64 s5, 0, v24
	s_delay_alu instid0(TRANS32_DEP_1) | instid1(VALU_DEP_1)
	v_dual_cndmask_b32 v19, v19, v23, s5 :: v_dual_add_nc_u32 v23, -1, v25
	s_delay_alu instid0(VALU_DEP_3) | instskip(NEXT) | instid1(VALU_DEP_1)
	v_cmp_lt_f32_e64 s5, 0, v26
	v_cndmask_b32_e64 v19, v19, v21, s5
	s_delay_alu instid0(VALU_DEP_3) | instskip(NEXT) | instid1(VALU_DEP_1)
	v_dual_add_nc_u32 v21, 1, v25 :: v_dual_fma_f32 v24, -v23, v25, v18
	v_fma_f32 v27, -v21, v25, v18
	s_delay_alu instid0(VALU_DEP_2) | instskip(NEXT) | instid1(VALU_DEP_1)
	v_cmp_ge_f32_e64 s5, 0, v24
	v_cndmask_b32_e64 v23, v25, v23, s5
	v_mul_f32_e32 v26, 0x37800000, v19
	s_delay_alu instid0(VALU_DEP_4) | instskip(NEXT) | instid1(VALU_DEP_1)
	v_cmp_lt_f32_e64 s5, 0, v27
	v_cndmask_b32_e64 v21, v23, v21, s5
	s_delay_alu instid0(VALU_DEP_3) | instskip(SKIP_1) | instid1(VALU_DEP_2)
	v_cndmask_b32_e32 v19, v19, v26, vcc_lo
	v_cmp_class_f32_e64 vcc_lo, v20, 0x260
	v_cndmask_b32_e32 v19, v19, v20, vcc_lo
	s_delay_alu instid0(VALU_DEP_1) | instskip(SKIP_3) | instid1(VALU_DEP_2)
	v_cmp_nge_f32_e32 vcc_lo, 1.0, v19
	v_cndmask_b32_e32 v4, v22, v4, vcc_lo
	v_mul_f32_e32 v20, 0x37800000, v21
	v_cmp_class_f32_e64 vcc_lo, v18, 0x260
	v_cndmask_b32_e64 v19, v21, v20, s4
	s_delay_alu instid0(VALU_DEP_1) | instskip(NEXT) | instid1(VALU_DEP_1)
	v_dual_add_f32 v20, 1.0, v4 :: v_dual_cndmask_b32 v18, v19, v18, vcc_lo
	v_cmp_nge_f32_e32 vcc_lo, 1.0, v18
	s_delay_alu instid0(VALU_DEP_2)
	v_cndmask_b32_e32 v4, v20, v4, vcc_lo
	s_cbranch_scc1 .LBB27_266
; %bb.267:
	s_delay_alu instid0(VALU_DEP_1) | instskip(NEXT) | instid1(VALU_DEP_1)
	v_mul_f32_e32 v4, 4.0, v4
	v_div_scale_f32 v17, null, 0x461c4000, 0x461c4000, v4
	s_delay_alu instid0(VALU_DEP_1) | instskip(SKIP_1) | instid1(TRANS32_DEP_1)
	v_rcp_f32_e32 v18, v17
	v_nop
	v_fma_f32 v19, -v17, v18, 1.0
	s_delay_alu instid0(VALU_DEP_1) | instskip(SKIP_1) | instid1(VALU_DEP_1)
	v_fmac_f32_e32 v18, v19, v18
	v_div_scale_f32 v19, vcc_lo, v4, 0x461c4000, v4
	v_mul_f32_e32 v20, v19, v18
	s_delay_alu instid0(VALU_DEP_1) | instskip(NEXT) | instid1(VALU_DEP_1)
	v_fma_f32 v21, -v17, v20, v19
	v_fmac_f32_e32 v20, v21, v18
	s_delay_alu instid0(VALU_DEP_1) | instskip(NEXT) | instid1(VALU_DEP_1)
	v_fma_f32 v17, -v17, v20, v19
	v_div_fmas_f32 v17, v17, v18, v20
	s_delay_alu instid0(VALU_DEP_1)
	v_div_fixup_f32 v4, v17, 0x461c4000, v4
.LBB27_268:
	s_or_b32 exec_lo, exec_lo, s7
	v_or_b32_e32 v17, 0x300, v0
	s_delay_alu instid0(VALU_DEP_1)
	v_cmp_gt_u32_e64 s4, s21, v17
	s_and_saveexec_b32 s7, s4
	s_cbranch_execz .LBB27_272
; %bb.269:
	v_add_nc_u32_e32 v3, s19, v17
	s_movk_i32 s9, 0x2710
	s_brev_b32 s8, 12
	s_delay_alu instid0(VALU_DEP_1) | instskip(NEXT) | instid1(VALU_DEP_1)
	v_lshlrev_b32_e32 v17, 12, v3
	v_add3_u32 v3, v3, v17, 0x7ed55d16
	s_delay_alu instid0(VALU_DEP_1) | instskip(NEXT) | instid1(VALU_DEP_1)
	v_lshrrev_b32_e32 v17, 19, v3
	v_xor3_b32 v3, v3, v17, 0xc761c23c
	s_delay_alu instid0(VALU_DEP_1) | instskip(NEXT) | instid1(VALU_DEP_1)
	v_lshl_add_u32 v3, v3, 5, v3
	v_add_nc_u32_e32 v17, 0xe9f8cc1d, v3
	v_lshl_add_u32 v3, v3, 9, 0xaccf6200
	s_delay_alu instid0(VALU_DEP_1) | instskip(NEXT) | instid1(VALU_DEP_1)
	v_xor_b32_e32 v3, v17, v3
	v_lshlrev_b32_e32 v17, 3, v3
	s_delay_alu instid0(VALU_DEP_1) | instskip(NEXT) | instid1(VALU_DEP_1)
	v_add3_u32 v3, v3, v17, 0xfd7046c5
	v_lshrrev_b32_e32 v17, 16, v3
	s_delay_alu instid0(VALU_DEP_1) | instskip(NEXT) | instid1(VALU_DEP_1)
	v_xor3_b32 v3, v3, v17, 0xb55a4f09
	v_mul_hi_u32 v17, v3, 3
	s_delay_alu instid0(VALU_DEP_1) | instskip(NEXT) | instid1(VALU_DEP_1)
	v_sub_nc_u32_e32 v18, v3, v17
	v_lshrrev_b32_e32 v18, 1, v18
	s_delay_alu instid0(VALU_DEP_1) | instskip(NEXT) | instid1(VALU_DEP_1)
	v_add_nc_u32_e32 v17, v18, v17
	v_lshrrev_b32_e32 v17, 30, v17
	s_delay_alu instid0(VALU_DEP_1) | instskip(NEXT) | instid1(VALU_DEP_1)
	v_mul_lo_u32 v17, 0x7fffffff, v17
	v_sub_nc_u32_e32 v3, v3, v17
	s_delay_alu instid0(VALU_DEP_1)
	v_max_u32_e32 v17, 1, v3
	v_mov_b32_e32 v3, 0
.LBB27_270:                             ; =>This Inner Loop Header: Depth=1
	s_delay_alu instid0(VALU_DEP_2) | instskip(NEXT) | instid1(VALU_DEP_1)
	v_mul_hi_u32 v18, 0xbc8f1391, v17
	v_lshrrev_b32_e32 v18, 15, v18
	s_delay_alu instid0(VALU_DEP_1) | instskip(NEXT) | instid1(VALU_DEP_1)
	v_mul_u32_u24_e32 v19, 0xadc8, v18
	v_sub_nc_u32_e32 v17, v17, v19
	v_mul_u32_u24_e32 v18, 0xd47, v18
	s_delay_alu instid0(VALU_DEP_2) | instskip(NEXT) | instid1(VALU_DEP_2)
	v_mul_lo_u32 v17, 0xbc8f, v17
	v_xor_b32_e32 v19, 0x7fffffff, v18
	v_sub_nc_u32_e32 v20, 0, v18
	s_delay_alu instid0(VALU_DEP_3) | instskip(NEXT) | instid1(VALU_DEP_2)
	v_cmp_lt_u32_e32 vcc_lo, v17, v18
	v_cndmask_b32_e32 v18, v20, v19, vcc_lo
	s_delay_alu instid0(VALU_DEP_1) | instskip(NEXT) | instid1(VALU_DEP_1)
	v_add_nc_u32_e32 v17, v18, v17
	v_mul_hi_u32 v18, 0xbc8f1391, v17
	s_delay_alu instid0(VALU_DEP_1) | instskip(NEXT) | instid1(VALU_DEP_1)
	v_lshrrev_b32_e32 v18, 15, v18
	v_mul_u32_u24_e32 v19, 0xadc8, v18
	v_mul_u32_u24_e32 v18, 0xd47, v18
	s_delay_alu instid0(VALU_DEP_2) | instskip(NEXT) | instid1(VALU_DEP_2)
	v_sub_nc_u32_e32 v19, v17, v19
	v_xor_b32_e32 v20, 0x7fffffff, v18
	v_add_nc_u32_e32 v17, -1, v17
	s_delay_alu instid0(VALU_DEP_3) | instskip(SKIP_1) | instid1(VALU_DEP_2)
	v_mul_lo_u32 v19, 0xbc8f, v19
	v_sub_nc_u32_e32 v21, 0, v18
	v_cmp_lt_u32_e32 vcc_lo, v19, v18
	s_delay_alu instid0(VALU_DEP_2) | instskip(NEXT) | instid1(VALU_DEP_1)
	v_cndmask_b32_e32 v18, v21, v20, vcc_lo
	v_add_nc_u32_e32 v19, v18, v19
	s_delay_alu instid0(VALU_DEP_1) | instskip(NEXT) | instid1(VALU_DEP_1)
	v_mul_hi_u32 v18, 0xbc8f1391, v19
	v_lshrrev_b32_e32 v18, 15, v18
	s_delay_alu instid0(VALU_DEP_1) | instskip(SKIP_1) | instid1(VALU_DEP_2)
	v_mul_u32_u24_e32 v20, 0xadc8, v18
	v_mul_u32_u24_e32 v18, 0xd47, v18
	v_sub_nc_u32_e32 v20, v19, v20
	s_delay_alu instid0(VALU_DEP_2) | instskip(NEXT) | instid1(VALU_DEP_2)
	v_xor_b32_e32 v21, 0x7fffffff, v18
	v_mul_lo_u32 v20, 0xbc8f, v20
	v_sub_nc_u32_e32 v22, 0, v18
	s_delay_alu instid0(VALU_DEP_2) | instskip(NEXT) | instid1(VALU_DEP_2)
	v_cmp_lt_u32_e32 vcc_lo, v20, v18
	v_dual_cndmask_b32 v18, v22, v21, vcc_lo :: v_dual_add_f32 v22, 1.0, v3
	s_delay_alu instid0(VALU_DEP_1) | instskip(NEXT) | instid1(VALU_DEP_1)
	v_add_nc_u32_e32 v20, v18, v20
	v_mul_hi_u32 v18, 0xbc8f1391, v20
	s_delay_alu instid0(VALU_DEP_1) | instskip(NEXT) | instid1(VALU_DEP_1)
	v_lshrrev_b32_e32 v18, 15, v18
	v_mul_u32_u24_e32 v21, 0xadc8, v18
	v_mul_u32_u24_e32 v23, 0xd47, v18
	v_cvt_f32_u32_e32 v18, v17
	s_delay_alu instid0(VALU_DEP_3) | instskip(NEXT) | instid1(VALU_DEP_3)
	v_sub_nc_u32_e32 v21, v20, v21
	v_xor_b32_e32 v17, 0x7fffffff, v23
	v_dual_sub_nc_u32 v24, 0, v23 :: v_dual_add_nc_u32 v20, -1, v20
	s_delay_alu instid0(VALU_DEP_3) | instskip(NEXT) | instid1(VALU_DEP_2)
	v_mul_lo_u32 v21, 0xbc8f, v21
	v_cvt_f32_u32_e32 v20, v20
	s_delay_alu instid0(VALU_DEP_2) | instskip(NEXT) | instid1(VALU_DEP_4)
	v_cmp_lt_u32_e32 vcc_lo, v21, v23
	v_dual_add_nc_u32 v19, -1, v19 :: v_dual_cndmask_b32 v17, v24, v17, vcc_lo
	s_delay_alu instid0(VALU_DEP_1) | instskip(NEXT) | instid1(VALU_DEP_2)
	v_cvt_f32_u32_e32 v19, v19
	v_add_nc_u32_e32 v17, v17, v21
	s_delay_alu instid0(VALU_DEP_2) | instskip(NEXT) | instid1(VALU_DEP_1)
	v_pk_fma_f32 v[18:19], v[18:19], s[8:9], 0 op_sel_hi:[1,0,0]
	v_pk_mul_f32 v[18:19], v[18:19], v[18:19]
	s_delay_alu instid0(VALU_DEP_1) | instskip(NEXT) | instid1(VALU_DEP_1)
	v_dual_add_nc_u32 v21, -1, v17 :: v_dual_add_f32 v23, v18, v19
	v_cvt_f32_u32_e32 v21, v21
	s_delay_alu instid0(VALU_DEP_2) | instskip(NEXT) | instid1(VALU_DEP_2)
	v_cmp_gt_f32_e32 vcc_lo, 0xf800000, v23
	v_pk_fma_f32 v[18:19], v[20:21], s[8:9], 0 op_sel_hi:[1,0,0]
	s_add_co_i32 s9, s9, -2
	s_delay_alu instid0(SALU_CYCLE_1) | instskip(NEXT) | instid1(VALU_DEP_1)
	s_cmp_lg_u32 s9, 0
	v_pk_mul_f32 v[18:19], v[18:19], v[18:19]
	s_delay_alu instid0(VALU_DEP_1) | instskip(NEXT) | instid1(VALU_DEP_1)
	v_add_f32_e32 v18, v18, v19
	v_dual_mul_f32 v20, 0x4f800000, v23 :: v_dual_mul_f32 v21, 0x4f800000, v18
	s_delay_alu instid0(VALU_DEP_1) | instskip(SKIP_1) | instid1(VALU_DEP_2)
	v_cndmask_b32_e32 v20, v23, v20, vcc_lo
	v_cmp_gt_f32_e64 s5, 0xf800000, v18
	v_sqrt_f32_e32 v19, v20
	v_nop
	s_delay_alu instid0(TRANS32_DEP_1) | instskip(NEXT) | instid1(VALU_DEP_1)
	v_dual_add_nc_u32 v23, -1, v19 :: v_dual_cndmask_b32 v18, v18, v21, s5
	v_dual_add_nc_u32 v21, 1, v19 :: v_dual_fma_f32 v24, -v23, v19, v20
	s_delay_alu instid0(VALU_DEP_2) | instskip(NEXT) | instid1(VALU_DEP_1)
	v_sqrt_f32_e32 v25, v18
	v_fma_f32 v26, -v21, v19, v20
	s_delay_alu instid0(VALU_DEP_2)
	v_cmp_ge_f32_e64 s6, 0, v24
	s_delay_alu instid0(TRANS32_DEP_1) | instid1(VALU_DEP_1)
	v_dual_cndmask_b32 v19, v19, v23, s6 :: v_dual_add_nc_u32 v23, -1, v25
	s_delay_alu instid0(VALU_DEP_3) | instskip(NEXT) | instid1(VALU_DEP_1)
	v_cmp_lt_f32_e64 s6, 0, v26
	v_cndmask_b32_e64 v19, v19, v21, s6
	s_delay_alu instid0(VALU_DEP_3) | instskip(NEXT) | instid1(VALU_DEP_1)
	v_dual_add_nc_u32 v21, 1, v25 :: v_dual_fma_f32 v24, -v23, v25, v18
	v_fma_f32 v27, -v21, v25, v18
	s_delay_alu instid0(VALU_DEP_2) | instskip(NEXT) | instid1(VALU_DEP_1)
	v_cmp_ge_f32_e64 s6, 0, v24
	v_cndmask_b32_e64 v23, v25, v23, s6
	v_mul_f32_e32 v26, 0x37800000, v19
	s_delay_alu instid0(VALU_DEP_4) | instskip(NEXT) | instid1(VALU_DEP_1)
	v_cmp_lt_f32_e64 s6, 0, v27
	v_cndmask_b32_e64 v21, v23, v21, s6
	s_delay_alu instid0(VALU_DEP_3) | instskip(SKIP_1) | instid1(VALU_DEP_2)
	v_cndmask_b32_e32 v19, v19, v26, vcc_lo
	v_cmp_class_f32_e64 vcc_lo, v20, 0x260
	v_cndmask_b32_e32 v19, v19, v20, vcc_lo
	s_delay_alu instid0(VALU_DEP_1) | instskip(SKIP_2) | instid1(VALU_DEP_2)
	v_cmp_nge_f32_e32 vcc_lo, 1.0, v19
	v_dual_cndmask_b32 v3, v22, v3 :: v_dual_mul_f32 v20, 0x37800000, v21
	v_cmp_class_f32_e64 vcc_lo, v18, 0x260
	v_dual_cndmask_b32 v19, v21, v20, s5 :: v_dual_add_f32 v20, 1.0, v3
	s_delay_alu instid0(VALU_DEP_1) | instskip(NEXT) | instid1(VALU_DEP_1)
	v_cndmask_b32_e32 v18, v19, v18, vcc_lo
	v_cmp_nge_f32_e32 vcc_lo, 1.0, v18
	s_delay_alu instid0(VALU_DEP_3)
	v_cndmask_b32_e32 v3, v20, v3, vcc_lo
	s_cbranch_scc1 .LBB27_270
; %bb.271:
	s_delay_alu instid0(VALU_DEP_1) | instskip(NEXT) | instid1(VALU_DEP_1)
	v_mul_f32_e32 v3, 4.0, v3
	v_div_scale_f32 v17, null, 0x461c4000, 0x461c4000, v3
	s_delay_alu instid0(VALU_DEP_1) | instskip(SKIP_1) | instid1(TRANS32_DEP_1)
	v_rcp_f32_e32 v18, v17
	v_nop
	v_fma_f32 v19, -v17, v18, 1.0
	s_delay_alu instid0(VALU_DEP_1) | instskip(SKIP_1) | instid1(VALU_DEP_1)
	v_fmac_f32_e32 v18, v19, v18
	v_div_scale_f32 v19, vcc_lo, v3, 0x461c4000, v3
	v_mul_f32_e32 v20, v19, v18
	s_delay_alu instid0(VALU_DEP_1) | instskip(NEXT) | instid1(VALU_DEP_1)
	v_fma_f32 v21, -v17, v20, v19
	v_fmac_f32_e32 v20, v21, v18
	s_delay_alu instid0(VALU_DEP_1) | instskip(NEXT) | instid1(VALU_DEP_1)
	v_fma_f32 v17, -v17, v20, v19
	v_div_fmas_f32 v17, v17, v18, v20
	s_delay_alu instid0(VALU_DEP_1)
	v_div_fixup_f32 v3, v17, 0x461c4000, v3
.LBB27_272:
	s_or_b32 exec_lo, exec_lo, s7
	v_or_b32_e32 v17, 0x400, v0
	s_delay_alu instid0(VALU_DEP_1)
	v_cmp_gt_u32_e64 s5, s21, v17
	s_and_saveexec_b32 s9, s5
	s_cbranch_execz .LBB27_276
; %bb.273:
	v_add_nc_u32_e32 v6, s19, v17
	s_movk_i32 s10, 0x2710
	s_brev_b32 s8, 12
	s_delay_alu instid0(VALU_DEP_1) | instskip(NEXT) | instid1(VALU_DEP_1)
	v_lshlrev_b32_e32 v17, 12, v6
	v_add3_u32 v6, v6, v17, 0x7ed55d16
	s_delay_alu instid0(VALU_DEP_1) | instskip(NEXT) | instid1(VALU_DEP_1)
	v_lshrrev_b32_e32 v17, 19, v6
	v_xor3_b32 v6, v6, v17, 0xc761c23c
	s_delay_alu instid0(VALU_DEP_1) | instskip(NEXT) | instid1(VALU_DEP_1)
	v_lshl_add_u32 v6, v6, 5, v6
	v_add_nc_u32_e32 v17, 0xe9f8cc1d, v6
	v_lshl_add_u32 v6, v6, 9, 0xaccf6200
	s_delay_alu instid0(VALU_DEP_1) | instskip(NEXT) | instid1(VALU_DEP_1)
	v_xor_b32_e32 v6, v17, v6
	v_lshlrev_b32_e32 v17, 3, v6
	s_delay_alu instid0(VALU_DEP_1) | instskip(NEXT) | instid1(VALU_DEP_1)
	v_add3_u32 v6, v6, v17, 0xfd7046c5
	v_lshrrev_b32_e32 v17, 16, v6
	s_delay_alu instid0(VALU_DEP_1) | instskip(NEXT) | instid1(VALU_DEP_1)
	v_xor3_b32 v6, v6, v17, 0xb55a4f09
	v_mul_hi_u32 v17, v6, 3
	s_delay_alu instid0(VALU_DEP_1) | instskip(NEXT) | instid1(VALU_DEP_1)
	v_sub_nc_u32_e32 v18, v6, v17
	v_lshrrev_b32_e32 v18, 1, v18
	s_delay_alu instid0(VALU_DEP_1) | instskip(NEXT) | instid1(VALU_DEP_1)
	v_add_nc_u32_e32 v17, v18, v17
	v_lshrrev_b32_e32 v17, 30, v17
	s_delay_alu instid0(VALU_DEP_1) | instskip(NEXT) | instid1(VALU_DEP_1)
	v_mul_lo_u32 v17, 0x7fffffff, v17
	v_sub_nc_u32_e32 v6, v6, v17
	s_delay_alu instid0(VALU_DEP_1)
	v_max_u32_e32 v17, 1, v6
	v_mov_b32_e32 v6, 0
.LBB27_274:                             ; =>This Inner Loop Header: Depth=1
	s_delay_alu instid0(VALU_DEP_2) | instskip(SKIP_1) | instid1(SALU_CYCLE_1)
	v_mul_hi_u32 v18, 0xbc8f1391, v17
	s_add_co_i32 s10, s10, -2
	s_cmp_lg_u32 s10, 0
	s_delay_alu instid0(VALU_DEP_1) | instskip(NEXT) | instid1(VALU_DEP_1)
	v_lshrrev_b32_e32 v18, 15, v18
	v_mul_u32_u24_e32 v19, 0xadc8, v18
	s_delay_alu instid0(VALU_DEP_1) | instskip(SKIP_1) | instid1(VALU_DEP_2)
	v_sub_nc_u32_e32 v17, v17, v19
	v_mul_u32_u24_e32 v18, 0xd47, v18
	v_mul_lo_u32 v17, 0xbc8f, v17
	s_delay_alu instid0(VALU_DEP_2) | instskip(SKIP_1) | instid1(VALU_DEP_3)
	v_xor_b32_e32 v19, 0x7fffffff, v18
	v_sub_nc_u32_e32 v20, 0, v18
	v_cmp_lt_u32_e32 vcc_lo, v17, v18
	s_delay_alu instid0(VALU_DEP_2) | instskip(NEXT) | instid1(VALU_DEP_1)
	v_cndmask_b32_e32 v18, v20, v19, vcc_lo
	v_add_nc_u32_e32 v17, v18, v17
	s_delay_alu instid0(VALU_DEP_1) | instskip(NEXT) | instid1(VALU_DEP_1)
	v_mul_hi_u32 v18, 0xbc8f1391, v17
	v_lshrrev_b32_e32 v18, 15, v18
	s_delay_alu instid0(VALU_DEP_1) | instskip(SKIP_1) | instid1(VALU_DEP_2)
	v_mul_u32_u24_e32 v19, 0xadc8, v18
	v_mul_u32_u24_e32 v18, 0xd47, v18
	v_sub_nc_u32_e32 v19, v17, v19
	s_delay_alu instid0(VALU_DEP_2) | instskip(SKIP_1) | instid1(VALU_DEP_3)
	v_xor_b32_e32 v20, 0x7fffffff, v18
	v_add_nc_u32_e32 v17, -1, v17
	v_mul_lo_u32 v19, 0xbc8f, v19
	v_sub_nc_u32_e32 v21, 0, v18
	s_delay_alu instid0(VALU_DEP_2) | instskip(NEXT) | instid1(VALU_DEP_2)
	v_cmp_lt_u32_e32 vcc_lo, v19, v18
	v_cndmask_b32_e32 v18, v21, v20, vcc_lo
	s_delay_alu instid0(VALU_DEP_1) | instskip(NEXT) | instid1(VALU_DEP_1)
	v_add_nc_u32_e32 v19, v18, v19
	v_mul_hi_u32 v18, 0xbc8f1391, v19
	s_delay_alu instid0(VALU_DEP_1) | instskip(NEXT) | instid1(VALU_DEP_1)
	v_lshrrev_b32_e32 v18, 15, v18
	v_mul_u32_u24_e32 v20, 0xadc8, v18
	v_mul_u32_u24_e32 v18, 0xd47, v18
	s_delay_alu instid0(VALU_DEP_2) | instskip(NEXT) | instid1(VALU_DEP_2)
	v_sub_nc_u32_e32 v20, v19, v20
	v_xor_b32_e32 v21, 0x7fffffff, v18
	s_delay_alu instid0(VALU_DEP_2) | instskip(SKIP_1) | instid1(VALU_DEP_2)
	v_mul_lo_u32 v20, 0xbc8f, v20
	v_sub_nc_u32_e32 v22, 0, v18
	v_cmp_lt_u32_e32 vcc_lo, v20, v18
	s_delay_alu instid0(VALU_DEP_2) | instskip(NEXT) | instid1(VALU_DEP_1)
	v_dual_cndmask_b32 v18, v22, v21, vcc_lo :: v_dual_add_f32 v22, 1.0, v6
	v_add_nc_u32_e32 v20, v18, v20
	s_delay_alu instid0(VALU_DEP_1) | instskip(NEXT) | instid1(VALU_DEP_1)
	v_mul_hi_u32 v18, 0xbc8f1391, v20
	v_lshrrev_b32_e32 v18, 15, v18
	s_delay_alu instid0(VALU_DEP_1) | instskip(SKIP_2) | instid1(VALU_DEP_3)
	v_mul_u32_u24_e32 v21, 0xadc8, v18
	v_mul_u32_u24_e32 v23, 0xd47, v18
	v_cvt_f32_u32_e32 v18, v17
	v_sub_nc_u32_e32 v21, v20, v21
	s_delay_alu instid0(VALU_DEP_3) | instskip(SKIP_1) | instid1(VALU_DEP_3)
	v_xor_b32_e32 v17, 0x7fffffff, v23
	v_dual_sub_nc_u32 v24, 0, v23 :: v_dual_add_nc_u32 v20, -1, v20
	v_mul_lo_u32 v21, 0xbc8f, v21
	s_delay_alu instid0(VALU_DEP_2) | instskip(NEXT) | instid1(VALU_DEP_2)
	v_cvt_f32_u32_e32 v20, v20
	v_cmp_lt_u32_e32 vcc_lo, v21, v23
	s_delay_alu instid0(VALU_DEP_4) | instskip(NEXT) | instid1(VALU_DEP_1)
	v_dual_add_nc_u32 v19, -1, v19 :: v_dual_cndmask_b32 v17, v24, v17, vcc_lo
	v_cvt_f32_u32_e32 v19, v19
	s_delay_alu instid0(VALU_DEP_2) | instskip(NEXT) | instid1(VALU_DEP_2)
	v_add_nc_u32_e32 v17, v17, v21
	v_pk_fma_f32 v[18:19], v[18:19], s[8:9], 0 op_sel_hi:[1,0,0]
	s_delay_alu instid0(VALU_DEP_1) | instskip(NEXT) | instid1(VALU_DEP_1)
	v_pk_mul_f32 v[18:19], v[18:19], v[18:19]
	v_dual_add_nc_u32 v21, -1, v17 :: v_dual_add_f32 v23, v18, v19
	s_delay_alu instid0(VALU_DEP_1) | instskip(NEXT) | instid1(VALU_DEP_2)
	v_cvt_f32_u32_e32 v21, v21
	v_cmp_gt_f32_e32 vcc_lo, 0xf800000, v23
	s_delay_alu instid0(VALU_DEP_2) | instskip(NEXT) | instid1(VALU_DEP_1)
	v_pk_fma_f32 v[18:19], v[20:21], s[8:9], 0 op_sel_hi:[1,0,0]
	v_pk_mul_f32 v[18:19], v[18:19], v[18:19]
	s_delay_alu instid0(VALU_DEP_1) | instskip(NEXT) | instid1(VALU_DEP_1)
	v_add_f32_e32 v18, v18, v19
	v_dual_mul_f32 v20, 0x4f800000, v23 :: v_dual_mul_f32 v21, 0x4f800000, v18
	s_delay_alu instid0(VALU_DEP_1) | instskip(SKIP_1) | instid1(VALU_DEP_2)
	v_cndmask_b32_e32 v20, v23, v20, vcc_lo
	v_cmp_gt_f32_e64 s6, 0xf800000, v18
	v_sqrt_f32_e32 v19, v20
	v_nop
	s_delay_alu instid0(TRANS32_DEP_1) | instskip(NEXT) | instid1(VALU_DEP_1)
	v_dual_add_nc_u32 v23, -1, v19 :: v_dual_cndmask_b32 v18, v18, v21, s6
	v_dual_add_nc_u32 v21, 1, v19 :: v_dual_fma_f32 v24, -v23, v19, v20
	s_delay_alu instid0(VALU_DEP_2) | instskip(NEXT) | instid1(VALU_DEP_1)
	v_sqrt_f32_e32 v25, v18
	v_fma_f32 v26, -v21, v19, v20
	s_delay_alu instid0(VALU_DEP_2)
	v_cmp_ge_f32_e64 s7, 0, v24
	s_delay_alu instid0(TRANS32_DEP_1) | instid1(VALU_DEP_1)
	v_dual_cndmask_b32 v19, v19, v23, s7 :: v_dual_add_nc_u32 v23, -1, v25
	s_delay_alu instid0(VALU_DEP_3) | instskip(NEXT) | instid1(VALU_DEP_1)
	v_cmp_lt_f32_e64 s7, 0, v26
	v_cndmask_b32_e64 v19, v19, v21, s7
	s_delay_alu instid0(VALU_DEP_3) | instskip(NEXT) | instid1(VALU_DEP_1)
	v_dual_add_nc_u32 v21, 1, v25 :: v_dual_fma_f32 v24, -v23, v25, v18
	v_fma_f32 v27, -v21, v25, v18
	s_delay_alu instid0(VALU_DEP_2) | instskip(NEXT) | instid1(VALU_DEP_1)
	v_cmp_ge_f32_e64 s7, 0, v24
	v_cndmask_b32_e64 v23, v25, v23, s7
	v_mul_f32_e32 v26, 0x37800000, v19
	s_delay_alu instid0(VALU_DEP_4) | instskip(NEXT) | instid1(VALU_DEP_1)
	v_cmp_lt_f32_e64 s7, 0, v27
	v_cndmask_b32_e64 v21, v23, v21, s7
	s_delay_alu instid0(VALU_DEP_3) | instskip(SKIP_1) | instid1(VALU_DEP_2)
	v_cndmask_b32_e32 v19, v19, v26, vcc_lo
	v_cmp_class_f32_e64 vcc_lo, v20, 0x260
	v_cndmask_b32_e32 v19, v19, v20, vcc_lo
	s_delay_alu instid0(VALU_DEP_1) | instskip(SKIP_3) | instid1(VALU_DEP_2)
	v_cmp_nge_f32_e32 vcc_lo, 1.0, v19
	v_cndmask_b32_e32 v6, v22, v6, vcc_lo
	v_mul_f32_e32 v20, 0x37800000, v21
	v_cmp_class_f32_e64 vcc_lo, v18, 0x260
	v_dual_cndmask_b32 v19, v21, v20, s6 :: v_dual_add_f32 v20, 1.0, v6
	s_delay_alu instid0(VALU_DEP_1) | instskip(NEXT) | instid1(VALU_DEP_1)
	v_cndmask_b32_e32 v18, v19, v18, vcc_lo
	v_cmp_nge_f32_e32 vcc_lo, 1.0, v18
	s_delay_alu instid0(VALU_DEP_3)
	v_cndmask_b32_e32 v6, v20, v6, vcc_lo
	s_cbranch_scc1 .LBB27_274
; %bb.275:
	s_delay_alu instid0(VALU_DEP_1) | instskip(NEXT) | instid1(VALU_DEP_1)
	v_mul_f32_e32 v6, 4.0, v6
	v_div_scale_f32 v17, null, 0x461c4000, 0x461c4000, v6
	s_delay_alu instid0(VALU_DEP_1) | instskip(SKIP_1) | instid1(TRANS32_DEP_1)
	v_rcp_f32_e32 v18, v17
	v_nop
	v_fma_f32 v19, -v17, v18, 1.0
	s_delay_alu instid0(VALU_DEP_1) | instskip(SKIP_1) | instid1(VALU_DEP_1)
	v_fmac_f32_e32 v18, v19, v18
	v_div_scale_f32 v19, vcc_lo, v6, 0x461c4000, v6
	v_mul_f32_e32 v20, v19, v18
	s_delay_alu instid0(VALU_DEP_1) | instskip(NEXT) | instid1(VALU_DEP_1)
	v_fma_f32 v21, -v17, v20, v19
	v_fmac_f32_e32 v20, v21, v18
	s_delay_alu instid0(VALU_DEP_1) | instskip(NEXT) | instid1(VALU_DEP_1)
	v_fma_f32 v17, -v17, v20, v19
	v_div_fmas_f32 v17, v17, v18, v20
	s_delay_alu instid0(VALU_DEP_1)
	v_div_fixup_f32 v6, v17, 0x461c4000, v6
.LBB27_276:
	s_or_b32 exec_lo, exec_lo, s9
	v_or_b32_e32 v17, 0x500, v0
	s_delay_alu instid0(VALU_DEP_1)
	v_cmp_gt_u32_e64 s6, s21, v17
	s_and_saveexec_b32 s9, s6
	s_cbranch_execz .LBB27_280
; %bb.277:
	v_add_nc_u32_e32 v5, s19, v17
	s_movk_i32 s11, 0x2710
	s_brev_b32 s10, 12
	s_delay_alu instid0(VALU_DEP_1) | instskip(NEXT) | instid1(VALU_DEP_1)
	v_lshlrev_b32_e32 v17, 12, v5
	v_add3_u32 v5, v5, v17, 0x7ed55d16
	s_delay_alu instid0(VALU_DEP_1) | instskip(NEXT) | instid1(VALU_DEP_1)
	v_lshrrev_b32_e32 v17, 19, v5
	v_xor3_b32 v5, v5, v17, 0xc761c23c
	s_delay_alu instid0(VALU_DEP_1) | instskip(NEXT) | instid1(VALU_DEP_1)
	v_lshl_add_u32 v5, v5, 5, v5
	v_add_nc_u32_e32 v17, 0xe9f8cc1d, v5
	v_lshl_add_u32 v5, v5, 9, 0xaccf6200
	s_delay_alu instid0(VALU_DEP_1) | instskip(NEXT) | instid1(VALU_DEP_1)
	v_xor_b32_e32 v5, v17, v5
	v_lshlrev_b32_e32 v17, 3, v5
	s_delay_alu instid0(VALU_DEP_1) | instskip(NEXT) | instid1(VALU_DEP_1)
	v_add3_u32 v5, v5, v17, 0xfd7046c5
	v_lshrrev_b32_e32 v17, 16, v5
	s_delay_alu instid0(VALU_DEP_1) | instskip(NEXT) | instid1(VALU_DEP_1)
	v_xor3_b32 v5, v5, v17, 0xb55a4f09
	v_mul_hi_u32 v17, v5, 3
	s_delay_alu instid0(VALU_DEP_1) | instskip(NEXT) | instid1(VALU_DEP_1)
	v_sub_nc_u32_e32 v18, v5, v17
	v_lshrrev_b32_e32 v18, 1, v18
	s_delay_alu instid0(VALU_DEP_1) | instskip(NEXT) | instid1(VALU_DEP_1)
	v_add_nc_u32_e32 v17, v18, v17
	v_lshrrev_b32_e32 v17, 30, v17
	s_delay_alu instid0(VALU_DEP_1) | instskip(NEXT) | instid1(VALU_DEP_1)
	v_mul_lo_u32 v17, 0x7fffffff, v17
	v_sub_nc_u32_e32 v5, v5, v17
	s_delay_alu instid0(VALU_DEP_1)
	v_max_u32_e32 v17, 1, v5
	v_mov_b32_e32 v5, 0
.LBB27_278:                             ; =>This Inner Loop Header: Depth=1
	s_delay_alu instid0(VALU_DEP_2) | instskip(NEXT) | instid1(VALU_DEP_1)
	v_mul_hi_u32 v18, 0xbc8f1391, v17
	v_lshrrev_b32_e32 v18, 15, v18
	s_delay_alu instid0(VALU_DEP_1) | instskip(NEXT) | instid1(VALU_DEP_1)
	v_mul_u32_u24_e32 v19, 0xadc8, v18
	v_sub_nc_u32_e32 v17, v17, v19
	v_mul_u32_u24_e32 v18, 0xd47, v18
	s_delay_alu instid0(VALU_DEP_2) | instskip(NEXT) | instid1(VALU_DEP_2)
	v_mul_lo_u32 v17, 0xbc8f, v17
	v_xor_b32_e32 v19, 0x7fffffff, v18
	v_sub_nc_u32_e32 v20, 0, v18
	s_delay_alu instid0(VALU_DEP_3) | instskip(NEXT) | instid1(VALU_DEP_2)
	v_cmp_lt_u32_e32 vcc_lo, v17, v18
	v_cndmask_b32_e32 v18, v20, v19, vcc_lo
	s_delay_alu instid0(VALU_DEP_1) | instskip(NEXT) | instid1(VALU_DEP_1)
	v_add_nc_u32_e32 v17, v18, v17
	v_mul_hi_u32 v18, 0xbc8f1391, v17
	s_delay_alu instid0(VALU_DEP_1) | instskip(NEXT) | instid1(VALU_DEP_1)
	v_lshrrev_b32_e32 v18, 15, v18
	v_mul_u32_u24_e32 v19, 0xadc8, v18
	v_mul_u32_u24_e32 v18, 0xd47, v18
	s_delay_alu instid0(VALU_DEP_2) | instskip(NEXT) | instid1(VALU_DEP_2)
	v_sub_nc_u32_e32 v19, v17, v19
	v_xor_b32_e32 v20, 0x7fffffff, v18
	v_add_nc_u32_e32 v17, -1, v17
	s_delay_alu instid0(VALU_DEP_3) | instskip(SKIP_1) | instid1(VALU_DEP_2)
	v_mul_lo_u32 v19, 0xbc8f, v19
	v_sub_nc_u32_e32 v21, 0, v18
	v_cmp_lt_u32_e32 vcc_lo, v19, v18
	s_delay_alu instid0(VALU_DEP_2) | instskip(NEXT) | instid1(VALU_DEP_1)
	v_cndmask_b32_e32 v18, v21, v20, vcc_lo
	v_add_nc_u32_e32 v19, v18, v19
	s_delay_alu instid0(VALU_DEP_1) | instskip(NEXT) | instid1(VALU_DEP_1)
	v_mul_hi_u32 v18, 0xbc8f1391, v19
	v_lshrrev_b32_e32 v18, 15, v18
	s_delay_alu instid0(VALU_DEP_1) | instskip(SKIP_1) | instid1(VALU_DEP_2)
	v_mul_u32_u24_e32 v20, 0xadc8, v18
	v_mul_u32_u24_e32 v18, 0xd47, v18
	v_sub_nc_u32_e32 v20, v19, v20
	s_delay_alu instid0(VALU_DEP_2) | instskip(NEXT) | instid1(VALU_DEP_2)
	v_xor_b32_e32 v21, 0x7fffffff, v18
	v_mul_lo_u32 v20, 0xbc8f, v20
	v_sub_nc_u32_e32 v22, 0, v18
	s_delay_alu instid0(VALU_DEP_2) | instskip(NEXT) | instid1(VALU_DEP_2)
	v_cmp_lt_u32_e32 vcc_lo, v20, v18
	v_cndmask_b32_e32 v18, v22, v21, vcc_lo
	s_delay_alu instid0(VALU_DEP_1) | instskip(NEXT) | instid1(VALU_DEP_1)
	v_dual_add_f32 v22, 1.0, v5 :: v_dual_add_nc_u32 v20, v18, v20
	v_mul_hi_u32 v18, 0xbc8f1391, v20
	s_delay_alu instid0(VALU_DEP_1) | instskip(NEXT) | instid1(VALU_DEP_1)
	v_lshrrev_b32_e32 v18, 15, v18
	v_mul_u32_u24_e32 v21, 0xadc8, v18
	v_mul_u32_u24_e32 v23, 0xd47, v18
	v_cvt_f32_u32_e32 v18, v17
	s_delay_alu instid0(VALU_DEP_3) | instskip(NEXT) | instid1(VALU_DEP_3)
	v_sub_nc_u32_e32 v21, v20, v21
	v_xor_b32_e32 v17, 0x7fffffff, v23
	v_dual_sub_nc_u32 v24, 0, v23 :: v_dual_add_nc_u32 v20, -1, v20
	s_delay_alu instid0(VALU_DEP_3) | instskip(NEXT) | instid1(VALU_DEP_2)
	v_mul_lo_u32 v21, 0xbc8f, v21
	v_cvt_f32_u32_e32 v20, v20
	s_delay_alu instid0(VALU_DEP_2) | instskip(NEXT) | instid1(VALU_DEP_4)
	v_cmp_lt_u32_e32 vcc_lo, v21, v23
	v_dual_add_nc_u32 v19, -1, v19 :: v_dual_cndmask_b32 v17, v24, v17, vcc_lo
	s_delay_alu instid0(VALU_DEP_1) | instskip(NEXT) | instid1(VALU_DEP_2)
	v_cvt_f32_u32_e32 v19, v19
	v_add_nc_u32_e32 v17, v17, v21
	s_delay_alu instid0(VALU_DEP_2) | instskip(NEXT) | instid1(VALU_DEP_1)
	v_pk_fma_f32 v[18:19], v[18:19], s[10:11], 0 op_sel_hi:[1,0,0]
	v_pk_mul_f32 v[18:19], v[18:19], v[18:19]
	s_delay_alu instid0(VALU_DEP_1) | instskip(NEXT) | instid1(VALU_DEP_1)
	v_dual_add_nc_u32 v21, -1, v17 :: v_dual_add_f32 v23, v18, v19
	v_cvt_f32_u32_e32 v21, v21
	s_delay_alu instid0(VALU_DEP_2) | instskip(NEXT) | instid1(VALU_DEP_2)
	v_cmp_gt_f32_e32 vcc_lo, 0xf800000, v23
	v_pk_fma_f32 v[18:19], v[20:21], s[10:11], 0 op_sel_hi:[1,0,0]
	s_add_co_i32 s11, s11, -2
	s_delay_alu instid0(SALU_CYCLE_1) | instskip(NEXT) | instid1(VALU_DEP_1)
	s_cmp_lg_u32 s11, 0
	v_pk_mul_f32 v[18:19], v[18:19], v[18:19]
	s_delay_alu instid0(VALU_DEP_1) | instskip(NEXT) | instid1(VALU_DEP_1)
	v_add_f32_e32 v18, v18, v19
	v_dual_mul_f32 v20, 0x4f800000, v23 :: v_dual_mul_f32 v21, 0x4f800000, v18
	s_delay_alu instid0(VALU_DEP_1) | instskip(SKIP_1) | instid1(VALU_DEP_2)
	v_cndmask_b32_e32 v20, v23, v20, vcc_lo
	v_cmp_gt_f32_e64 s7, 0xf800000, v18
	v_sqrt_f32_e32 v19, v20
	v_nop
	s_delay_alu instid0(TRANS32_DEP_1) | instskip(NEXT) | instid1(VALU_DEP_1)
	v_dual_add_nc_u32 v23, -1, v19 :: v_dual_cndmask_b32 v18, v18, v21, s7
	v_dual_add_nc_u32 v21, 1, v19 :: v_dual_fma_f32 v24, -v23, v19, v20
	s_delay_alu instid0(VALU_DEP_2) | instskip(NEXT) | instid1(VALU_DEP_1)
	v_sqrt_f32_e32 v25, v18
	v_fma_f32 v26, -v21, v19, v20
	s_delay_alu instid0(VALU_DEP_2)
	v_cmp_ge_f32_e64 s8, 0, v24
	s_delay_alu instid0(TRANS32_DEP_1) | instid1(VALU_DEP_1)
	v_dual_cndmask_b32 v19, v19, v23, s8 :: v_dual_add_nc_u32 v23, -1, v25
	s_delay_alu instid0(VALU_DEP_3) | instskip(NEXT) | instid1(VALU_DEP_1)
	v_cmp_lt_f32_e64 s8, 0, v26
	v_cndmask_b32_e64 v19, v19, v21, s8
	s_delay_alu instid0(VALU_DEP_3) | instskip(NEXT) | instid1(VALU_DEP_1)
	v_dual_add_nc_u32 v21, 1, v25 :: v_dual_fma_f32 v24, -v23, v25, v18
	v_fma_f32 v27, -v21, v25, v18
	s_delay_alu instid0(VALU_DEP_2) | instskip(NEXT) | instid1(VALU_DEP_1)
	v_cmp_ge_f32_e64 s8, 0, v24
	v_cndmask_b32_e64 v23, v25, v23, s8
	v_mul_f32_e32 v26, 0x37800000, v19
	s_delay_alu instid0(VALU_DEP_4) | instskip(NEXT) | instid1(VALU_DEP_1)
	v_cmp_lt_f32_e64 s8, 0, v27
	v_cndmask_b32_e64 v21, v23, v21, s8
	s_delay_alu instid0(VALU_DEP_3) | instskip(SKIP_1) | instid1(VALU_DEP_2)
	v_cndmask_b32_e32 v19, v19, v26, vcc_lo
	v_cmp_class_f32_e64 vcc_lo, v20, 0x260
	v_dual_cndmask_b32 v19, v19, v20 :: v_dual_mul_f32 v20, 0x37800000, v21
	s_delay_alu instid0(VALU_DEP_1) | instskip(NEXT) | instid1(VALU_DEP_2)
	v_cmp_nge_f32_e32 vcc_lo, 1.0, v19
	v_dual_cndmask_b32 v19, v21, v20, s7 :: v_dual_cndmask_b32 v5, v22, v5, vcc_lo
	v_cmp_class_f32_e64 vcc_lo, v18, 0x260
	s_delay_alu instid0(VALU_DEP_1) | instskip(NEXT) | instid1(VALU_DEP_1)
	v_dual_add_f32 v20, 1.0, v5 :: v_dual_cndmask_b32 v18, v19, v18, vcc_lo
	v_cmp_nge_f32_e32 vcc_lo, 1.0, v18
	s_delay_alu instid0(VALU_DEP_2)
	v_cndmask_b32_e32 v5, v20, v5, vcc_lo
	s_cbranch_scc1 .LBB27_278
; %bb.279:
	s_delay_alu instid0(VALU_DEP_1) | instskip(NEXT) | instid1(VALU_DEP_1)
	v_mul_f32_e32 v5, 4.0, v5
	v_div_scale_f32 v17, null, 0x461c4000, 0x461c4000, v5
	s_delay_alu instid0(VALU_DEP_1) | instskip(SKIP_1) | instid1(TRANS32_DEP_1)
	v_rcp_f32_e32 v18, v17
	v_nop
	v_fma_f32 v19, -v17, v18, 1.0
	s_delay_alu instid0(VALU_DEP_1) | instskip(SKIP_1) | instid1(VALU_DEP_1)
	v_fmac_f32_e32 v18, v19, v18
	v_div_scale_f32 v19, vcc_lo, v5, 0x461c4000, v5
	v_mul_f32_e32 v20, v19, v18
	s_delay_alu instid0(VALU_DEP_1) | instskip(NEXT) | instid1(VALU_DEP_1)
	v_fma_f32 v21, -v17, v20, v19
	v_fmac_f32_e32 v20, v21, v18
	s_delay_alu instid0(VALU_DEP_1) | instskip(NEXT) | instid1(VALU_DEP_1)
	v_fma_f32 v17, -v17, v20, v19
	v_div_fmas_f32 v17, v17, v18, v20
	s_delay_alu instid0(VALU_DEP_1)
	v_div_fixup_f32 v5, v17, 0x461c4000, v5
.LBB27_280:
	s_or_b32 exec_lo, exec_lo, s9
	v_or_b32_e32 v17, 0x600, v0
	s_delay_alu instid0(VALU_DEP_1)
	v_cmp_gt_u32_e64 s7, s21, v17
	s_and_saveexec_b32 s11, s7
	s_cbranch_execz .LBB27_284
; %bb.281:
	v_add_nc_u32_e32 v8, s19, v17
	s_movk_i32 s12, 0x2710
	s_brev_b32 s10, 12
	s_delay_alu instid0(VALU_DEP_1) | instskip(NEXT) | instid1(VALU_DEP_1)
	v_lshlrev_b32_e32 v17, 12, v8
	v_add3_u32 v8, v8, v17, 0x7ed55d16
	s_delay_alu instid0(VALU_DEP_1) | instskip(NEXT) | instid1(VALU_DEP_1)
	v_lshrrev_b32_e32 v17, 19, v8
	v_xor3_b32 v8, v8, v17, 0xc761c23c
	s_delay_alu instid0(VALU_DEP_1) | instskip(NEXT) | instid1(VALU_DEP_1)
	v_lshl_add_u32 v8, v8, 5, v8
	v_add_nc_u32_e32 v17, 0xe9f8cc1d, v8
	v_lshl_add_u32 v8, v8, 9, 0xaccf6200
	s_delay_alu instid0(VALU_DEP_1) | instskip(NEXT) | instid1(VALU_DEP_1)
	v_xor_b32_e32 v8, v17, v8
	v_lshlrev_b32_e32 v17, 3, v8
	s_delay_alu instid0(VALU_DEP_1) | instskip(NEXT) | instid1(VALU_DEP_1)
	v_add3_u32 v8, v8, v17, 0xfd7046c5
	v_lshrrev_b32_e32 v17, 16, v8
	s_delay_alu instid0(VALU_DEP_1) | instskip(NEXT) | instid1(VALU_DEP_1)
	v_xor3_b32 v8, v8, v17, 0xb55a4f09
	v_mul_hi_u32 v17, v8, 3
	s_delay_alu instid0(VALU_DEP_1) | instskip(NEXT) | instid1(VALU_DEP_1)
	v_sub_nc_u32_e32 v18, v8, v17
	v_lshrrev_b32_e32 v18, 1, v18
	s_delay_alu instid0(VALU_DEP_1) | instskip(NEXT) | instid1(VALU_DEP_1)
	v_add_nc_u32_e32 v17, v18, v17
	v_lshrrev_b32_e32 v17, 30, v17
	s_delay_alu instid0(VALU_DEP_1) | instskip(NEXT) | instid1(VALU_DEP_1)
	v_mul_lo_u32 v17, 0x7fffffff, v17
	v_sub_nc_u32_e32 v8, v8, v17
	s_delay_alu instid0(VALU_DEP_1)
	v_max_u32_e32 v17, 1, v8
	v_mov_b32_e32 v8, 0
.LBB27_282:                             ; =>This Inner Loop Header: Depth=1
	s_delay_alu instid0(VALU_DEP_2) | instskip(SKIP_1) | instid1(SALU_CYCLE_1)
	v_mul_hi_u32 v18, 0xbc8f1391, v17
	s_add_co_i32 s12, s12, -2
	s_cmp_lg_u32 s12, 0
	s_delay_alu instid0(VALU_DEP_1) | instskip(NEXT) | instid1(VALU_DEP_1)
	v_lshrrev_b32_e32 v18, 15, v18
	v_mul_u32_u24_e32 v19, 0xadc8, v18
	s_delay_alu instid0(VALU_DEP_1) | instskip(SKIP_1) | instid1(VALU_DEP_2)
	v_sub_nc_u32_e32 v17, v17, v19
	v_mul_u32_u24_e32 v18, 0xd47, v18
	v_mul_lo_u32 v17, 0xbc8f, v17
	s_delay_alu instid0(VALU_DEP_2) | instskip(SKIP_1) | instid1(VALU_DEP_3)
	v_xor_b32_e32 v19, 0x7fffffff, v18
	v_sub_nc_u32_e32 v20, 0, v18
	v_cmp_lt_u32_e32 vcc_lo, v17, v18
	s_delay_alu instid0(VALU_DEP_2) | instskip(NEXT) | instid1(VALU_DEP_1)
	v_cndmask_b32_e32 v18, v20, v19, vcc_lo
	v_add_nc_u32_e32 v17, v18, v17
	s_delay_alu instid0(VALU_DEP_1) | instskip(NEXT) | instid1(VALU_DEP_1)
	v_mul_hi_u32 v18, 0xbc8f1391, v17
	v_lshrrev_b32_e32 v18, 15, v18
	s_delay_alu instid0(VALU_DEP_1) | instskip(SKIP_1) | instid1(VALU_DEP_2)
	v_mul_u32_u24_e32 v19, 0xadc8, v18
	v_mul_u32_u24_e32 v18, 0xd47, v18
	v_sub_nc_u32_e32 v19, v17, v19
	s_delay_alu instid0(VALU_DEP_2) | instskip(SKIP_1) | instid1(VALU_DEP_3)
	v_xor_b32_e32 v20, 0x7fffffff, v18
	v_add_nc_u32_e32 v17, -1, v17
	v_mul_lo_u32 v19, 0xbc8f, v19
	v_sub_nc_u32_e32 v21, 0, v18
	s_delay_alu instid0(VALU_DEP_2) | instskip(NEXT) | instid1(VALU_DEP_2)
	v_cmp_lt_u32_e32 vcc_lo, v19, v18
	v_cndmask_b32_e32 v18, v21, v20, vcc_lo
	s_delay_alu instid0(VALU_DEP_1) | instskip(NEXT) | instid1(VALU_DEP_1)
	v_add_nc_u32_e32 v19, v18, v19
	v_mul_hi_u32 v18, 0xbc8f1391, v19
	s_delay_alu instid0(VALU_DEP_1) | instskip(NEXT) | instid1(VALU_DEP_1)
	v_lshrrev_b32_e32 v18, 15, v18
	v_mul_u32_u24_e32 v20, 0xadc8, v18
	v_mul_u32_u24_e32 v18, 0xd47, v18
	s_delay_alu instid0(VALU_DEP_2) | instskip(NEXT) | instid1(VALU_DEP_2)
	v_sub_nc_u32_e32 v20, v19, v20
	v_xor_b32_e32 v21, 0x7fffffff, v18
	s_delay_alu instid0(VALU_DEP_2) | instskip(SKIP_1) | instid1(VALU_DEP_2)
	v_mul_lo_u32 v20, 0xbc8f, v20
	v_sub_nc_u32_e32 v22, 0, v18
	v_cmp_lt_u32_e32 vcc_lo, v20, v18
	s_delay_alu instid0(VALU_DEP_2) | instskip(NEXT) | instid1(VALU_DEP_1)
	v_dual_cndmask_b32 v18, v22, v21, vcc_lo :: v_dual_add_f32 v22, 1.0, v8
	v_add_nc_u32_e32 v20, v18, v20
	s_delay_alu instid0(VALU_DEP_1) | instskip(NEXT) | instid1(VALU_DEP_1)
	v_mul_hi_u32 v18, 0xbc8f1391, v20
	v_lshrrev_b32_e32 v18, 15, v18
	s_delay_alu instid0(VALU_DEP_1) | instskip(SKIP_2) | instid1(VALU_DEP_3)
	v_mul_u32_u24_e32 v21, 0xadc8, v18
	v_mul_u32_u24_e32 v23, 0xd47, v18
	v_cvt_f32_u32_e32 v18, v17
	v_sub_nc_u32_e32 v21, v20, v21
	s_delay_alu instid0(VALU_DEP_3) | instskip(SKIP_1) | instid1(VALU_DEP_3)
	v_xor_b32_e32 v17, 0x7fffffff, v23
	v_dual_sub_nc_u32 v24, 0, v23 :: v_dual_add_nc_u32 v20, -1, v20
	v_mul_lo_u32 v21, 0xbc8f, v21
	s_delay_alu instid0(VALU_DEP_2) | instskip(NEXT) | instid1(VALU_DEP_2)
	v_cvt_f32_u32_e32 v20, v20
	v_cmp_lt_u32_e32 vcc_lo, v21, v23
	s_delay_alu instid0(VALU_DEP_4) | instskip(NEXT) | instid1(VALU_DEP_1)
	v_dual_add_nc_u32 v19, -1, v19 :: v_dual_cndmask_b32 v17, v24, v17, vcc_lo
	v_cvt_f32_u32_e32 v19, v19
	s_delay_alu instid0(VALU_DEP_2) | instskip(NEXT) | instid1(VALU_DEP_2)
	v_add_nc_u32_e32 v17, v17, v21
	v_pk_fma_f32 v[18:19], v[18:19], s[10:11], 0 op_sel_hi:[1,0,0]
	s_delay_alu instid0(VALU_DEP_1) | instskip(NEXT) | instid1(VALU_DEP_1)
	v_pk_mul_f32 v[18:19], v[18:19], v[18:19]
	v_dual_add_nc_u32 v21, -1, v17 :: v_dual_add_f32 v23, v18, v19
	s_delay_alu instid0(VALU_DEP_1) | instskip(NEXT) | instid1(VALU_DEP_2)
	v_cvt_f32_u32_e32 v21, v21
	v_cmp_gt_f32_e32 vcc_lo, 0xf800000, v23
	s_delay_alu instid0(VALU_DEP_2) | instskip(NEXT) | instid1(VALU_DEP_1)
	v_pk_fma_f32 v[18:19], v[20:21], s[10:11], 0 op_sel_hi:[1,0,0]
	v_pk_mul_f32 v[18:19], v[18:19], v[18:19]
	s_delay_alu instid0(VALU_DEP_1) | instskip(NEXT) | instid1(VALU_DEP_1)
	v_add_f32_e32 v18, v18, v19
	v_dual_mul_f32 v20, 0x4f800000, v23 :: v_dual_mul_f32 v21, 0x4f800000, v18
	s_delay_alu instid0(VALU_DEP_1) | instskip(SKIP_1) | instid1(VALU_DEP_2)
	v_cndmask_b32_e32 v20, v23, v20, vcc_lo
	v_cmp_gt_f32_e64 s8, 0xf800000, v18
	v_sqrt_f32_e32 v19, v20
	v_nop
	s_delay_alu instid0(TRANS32_DEP_1) | instskip(NEXT) | instid1(VALU_DEP_1)
	v_dual_add_nc_u32 v23, -1, v19 :: v_dual_cndmask_b32 v18, v18, v21, s8
	v_dual_add_nc_u32 v21, 1, v19 :: v_dual_fma_f32 v24, -v23, v19, v20
	s_delay_alu instid0(VALU_DEP_2) | instskip(NEXT) | instid1(VALU_DEP_1)
	v_sqrt_f32_e32 v25, v18
	v_fma_f32 v26, -v21, v19, v20
	s_delay_alu instid0(VALU_DEP_2)
	v_cmp_ge_f32_e64 s9, 0, v24
	s_delay_alu instid0(TRANS32_DEP_1) | instid1(VALU_DEP_1)
	v_dual_cndmask_b32 v19, v19, v23, s9 :: v_dual_add_nc_u32 v23, -1, v25
	s_delay_alu instid0(VALU_DEP_3) | instskip(NEXT) | instid1(VALU_DEP_1)
	v_cmp_lt_f32_e64 s9, 0, v26
	v_cndmask_b32_e64 v19, v19, v21, s9
	s_delay_alu instid0(VALU_DEP_3) | instskip(NEXT) | instid1(VALU_DEP_1)
	v_dual_add_nc_u32 v21, 1, v25 :: v_dual_fma_f32 v24, -v23, v25, v18
	v_fma_f32 v27, -v21, v25, v18
	s_delay_alu instid0(VALU_DEP_2) | instskip(NEXT) | instid1(VALU_DEP_1)
	v_cmp_ge_f32_e64 s9, 0, v24
	v_cndmask_b32_e64 v23, v25, v23, s9
	v_mul_f32_e32 v26, 0x37800000, v19
	s_delay_alu instid0(VALU_DEP_4) | instskip(NEXT) | instid1(VALU_DEP_1)
	v_cmp_lt_f32_e64 s9, 0, v27
	v_cndmask_b32_e64 v21, v23, v21, s9
	s_delay_alu instid0(VALU_DEP_3) | instskip(SKIP_1) | instid1(VALU_DEP_2)
	v_cndmask_b32_e32 v19, v19, v26, vcc_lo
	v_cmp_class_f32_e64 vcc_lo, v20, 0x260
	v_cndmask_b32_e32 v19, v19, v20, vcc_lo
	s_delay_alu instid0(VALU_DEP_1) | instskip(SKIP_3) | instid1(VALU_DEP_2)
	v_cmp_nge_f32_e32 vcc_lo, 1.0, v19
	v_cndmask_b32_e32 v8, v22, v8, vcc_lo
	v_mul_f32_e32 v20, 0x37800000, v21
	v_cmp_class_f32_e64 vcc_lo, v18, 0x260
	v_cndmask_b32_e64 v19, v21, v20, s8
	s_delay_alu instid0(VALU_DEP_1) | instskip(NEXT) | instid1(VALU_DEP_1)
	v_dual_add_f32 v20, 1.0, v8 :: v_dual_cndmask_b32 v18, v19, v18, vcc_lo
	v_cmp_nge_f32_e32 vcc_lo, 1.0, v18
	s_delay_alu instid0(VALU_DEP_2)
	v_cndmask_b32_e32 v8, v20, v8, vcc_lo
	s_cbranch_scc1 .LBB27_282
; %bb.283:
	s_delay_alu instid0(VALU_DEP_1) | instskip(NEXT) | instid1(VALU_DEP_1)
	v_mul_f32_e32 v8, 4.0, v8
	v_div_scale_f32 v17, null, 0x461c4000, 0x461c4000, v8
	s_delay_alu instid0(VALU_DEP_1) | instskip(SKIP_1) | instid1(TRANS32_DEP_1)
	v_rcp_f32_e32 v18, v17
	v_nop
	v_fma_f32 v19, -v17, v18, 1.0
	s_delay_alu instid0(VALU_DEP_1) | instskip(SKIP_1) | instid1(VALU_DEP_1)
	v_fmac_f32_e32 v18, v19, v18
	v_div_scale_f32 v19, vcc_lo, v8, 0x461c4000, v8
	v_mul_f32_e32 v20, v19, v18
	s_delay_alu instid0(VALU_DEP_1) | instskip(NEXT) | instid1(VALU_DEP_1)
	v_fma_f32 v21, -v17, v20, v19
	v_fmac_f32_e32 v20, v21, v18
	s_delay_alu instid0(VALU_DEP_1) | instskip(NEXT) | instid1(VALU_DEP_1)
	v_fma_f32 v17, -v17, v20, v19
	v_div_fmas_f32 v17, v17, v18, v20
	s_delay_alu instid0(VALU_DEP_1)
	v_div_fixup_f32 v8, v17, 0x461c4000, v8
.LBB27_284:
	s_or_b32 exec_lo, exec_lo, s11
	v_or_b32_e32 v17, 0x700, v0
	s_delay_alu instid0(VALU_DEP_1)
	v_cmp_gt_u32_e64 s8, s21, v17
	s_and_saveexec_b32 s11, s8
	s_cbranch_execz .LBB27_288
; %bb.285:
	v_add_nc_u32_e32 v7, s19, v17
	s_movk_i32 s13, 0x2710
	s_brev_b32 s12, 12
	s_delay_alu instid0(VALU_DEP_1) | instskip(NEXT) | instid1(VALU_DEP_1)
	v_lshlrev_b32_e32 v17, 12, v7
	v_add3_u32 v7, v7, v17, 0x7ed55d16
	s_delay_alu instid0(VALU_DEP_1) | instskip(NEXT) | instid1(VALU_DEP_1)
	v_lshrrev_b32_e32 v17, 19, v7
	v_xor3_b32 v7, v7, v17, 0xc761c23c
	s_delay_alu instid0(VALU_DEP_1) | instskip(NEXT) | instid1(VALU_DEP_1)
	v_lshl_add_u32 v7, v7, 5, v7
	v_add_nc_u32_e32 v17, 0xe9f8cc1d, v7
	v_lshl_add_u32 v7, v7, 9, 0xaccf6200
	s_delay_alu instid0(VALU_DEP_1) | instskip(NEXT) | instid1(VALU_DEP_1)
	v_xor_b32_e32 v7, v17, v7
	v_lshlrev_b32_e32 v17, 3, v7
	s_delay_alu instid0(VALU_DEP_1) | instskip(NEXT) | instid1(VALU_DEP_1)
	v_add3_u32 v7, v7, v17, 0xfd7046c5
	v_lshrrev_b32_e32 v17, 16, v7
	s_delay_alu instid0(VALU_DEP_1) | instskip(NEXT) | instid1(VALU_DEP_1)
	v_xor3_b32 v7, v7, v17, 0xb55a4f09
	v_mul_hi_u32 v17, v7, 3
	s_delay_alu instid0(VALU_DEP_1) | instskip(NEXT) | instid1(VALU_DEP_1)
	v_sub_nc_u32_e32 v18, v7, v17
	v_lshrrev_b32_e32 v18, 1, v18
	s_delay_alu instid0(VALU_DEP_1) | instskip(NEXT) | instid1(VALU_DEP_1)
	v_add_nc_u32_e32 v17, v18, v17
	v_lshrrev_b32_e32 v17, 30, v17
	s_delay_alu instid0(VALU_DEP_1) | instskip(NEXT) | instid1(VALU_DEP_1)
	v_mul_lo_u32 v17, 0x7fffffff, v17
	v_sub_nc_u32_e32 v7, v7, v17
	s_delay_alu instid0(VALU_DEP_1)
	v_max_u32_e32 v17, 1, v7
	v_mov_b32_e32 v7, 0
.LBB27_286:                             ; =>This Inner Loop Header: Depth=1
	s_delay_alu instid0(VALU_DEP_2) | instskip(NEXT) | instid1(VALU_DEP_1)
	v_mul_hi_u32 v18, 0xbc8f1391, v17
	v_lshrrev_b32_e32 v18, 15, v18
	s_delay_alu instid0(VALU_DEP_1) | instskip(NEXT) | instid1(VALU_DEP_1)
	v_mul_u32_u24_e32 v19, 0xadc8, v18
	v_sub_nc_u32_e32 v17, v17, v19
	v_mul_u32_u24_e32 v18, 0xd47, v18
	s_delay_alu instid0(VALU_DEP_2) | instskip(NEXT) | instid1(VALU_DEP_2)
	v_mul_lo_u32 v17, 0xbc8f, v17
	v_xor_b32_e32 v19, 0x7fffffff, v18
	v_sub_nc_u32_e32 v20, 0, v18
	s_delay_alu instid0(VALU_DEP_3) | instskip(NEXT) | instid1(VALU_DEP_2)
	v_cmp_lt_u32_e32 vcc_lo, v17, v18
	v_cndmask_b32_e32 v18, v20, v19, vcc_lo
	s_delay_alu instid0(VALU_DEP_1) | instskip(NEXT) | instid1(VALU_DEP_1)
	v_add_nc_u32_e32 v17, v18, v17
	v_mul_hi_u32 v18, 0xbc8f1391, v17
	s_delay_alu instid0(VALU_DEP_1) | instskip(NEXT) | instid1(VALU_DEP_1)
	v_lshrrev_b32_e32 v18, 15, v18
	v_mul_u32_u24_e32 v19, 0xadc8, v18
	v_mul_u32_u24_e32 v18, 0xd47, v18
	s_delay_alu instid0(VALU_DEP_2) | instskip(NEXT) | instid1(VALU_DEP_2)
	v_sub_nc_u32_e32 v19, v17, v19
	v_xor_b32_e32 v20, 0x7fffffff, v18
	v_add_nc_u32_e32 v17, -1, v17
	s_delay_alu instid0(VALU_DEP_3) | instskip(SKIP_1) | instid1(VALU_DEP_2)
	v_mul_lo_u32 v19, 0xbc8f, v19
	v_sub_nc_u32_e32 v21, 0, v18
	v_cmp_lt_u32_e32 vcc_lo, v19, v18
	s_delay_alu instid0(VALU_DEP_2) | instskip(NEXT) | instid1(VALU_DEP_1)
	v_cndmask_b32_e32 v18, v21, v20, vcc_lo
	v_add_nc_u32_e32 v19, v18, v19
	s_delay_alu instid0(VALU_DEP_1) | instskip(NEXT) | instid1(VALU_DEP_1)
	v_mul_hi_u32 v18, 0xbc8f1391, v19
	v_lshrrev_b32_e32 v18, 15, v18
	s_delay_alu instid0(VALU_DEP_1) | instskip(SKIP_1) | instid1(VALU_DEP_2)
	v_mul_u32_u24_e32 v20, 0xadc8, v18
	v_mul_u32_u24_e32 v18, 0xd47, v18
	v_sub_nc_u32_e32 v20, v19, v20
	s_delay_alu instid0(VALU_DEP_2) | instskip(NEXT) | instid1(VALU_DEP_2)
	v_xor_b32_e32 v21, 0x7fffffff, v18
	v_mul_lo_u32 v20, 0xbc8f, v20
	v_sub_nc_u32_e32 v22, 0, v18
	s_delay_alu instid0(VALU_DEP_2) | instskip(NEXT) | instid1(VALU_DEP_2)
	v_cmp_lt_u32_e32 vcc_lo, v20, v18
	v_dual_cndmask_b32 v18, v22, v21, vcc_lo :: v_dual_add_f32 v22, 1.0, v7
	s_delay_alu instid0(VALU_DEP_1) | instskip(NEXT) | instid1(VALU_DEP_1)
	v_add_nc_u32_e32 v20, v18, v20
	v_mul_hi_u32 v18, 0xbc8f1391, v20
	s_delay_alu instid0(VALU_DEP_1) | instskip(NEXT) | instid1(VALU_DEP_1)
	v_lshrrev_b32_e32 v18, 15, v18
	v_mul_u32_u24_e32 v21, 0xadc8, v18
	v_mul_u32_u24_e32 v23, 0xd47, v18
	v_cvt_f32_u32_e32 v18, v17
	s_delay_alu instid0(VALU_DEP_3) | instskip(NEXT) | instid1(VALU_DEP_3)
	v_sub_nc_u32_e32 v21, v20, v21
	v_xor_b32_e32 v17, 0x7fffffff, v23
	v_dual_sub_nc_u32 v24, 0, v23 :: v_dual_add_nc_u32 v20, -1, v20
	s_delay_alu instid0(VALU_DEP_3) | instskip(NEXT) | instid1(VALU_DEP_2)
	v_mul_lo_u32 v21, 0xbc8f, v21
	v_cvt_f32_u32_e32 v20, v20
	s_delay_alu instid0(VALU_DEP_2) | instskip(NEXT) | instid1(VALU_DEP_4)
	v_cmp_lt_u32_e32 vcc_lo, v21, v23
	v_dual_add_nc_u32 v19, -1, v19 :: v_dual_cndmask_b32 v17, v24, v17, vcc_lo
	s_delay_alu instid0(VALU_DEP_1) | instskip(NEXT) | instid1(VALU_DEP_2)
	v_cvt_f32_u32_e32 v19, v19
	v_add_nc_u32_e32 v17, v17, v21
	s_delay_alu instid0(VALU_DEP_2) | instskip(NEXT) | instid1(VALU_DEP_1)
	v_pk_fma_f32 v[18:19], v[18:19], s[12:13], 0 op_sel_hi:[1,0,0]
	v_pk_mul_f32 v[18:19], v[18:19], v[18:19]
	s_delay_alu instid0(VALU_DEP_1) | instskip(NEXT) | instid1(VALU_DEP_1)
	v_dual_add_nc_u32 v21, -1, v17 :: v_dual_add_f32 v23, v18, v19
	v_cvt_f32_u32_e32 v21, v21
	s_delay_alu instid0(VALU_DEP_2) | instskip(NEXT) | instid1(VALU_DEP_2)
	v_cmp_gt_f32_e32 vcc_lo, 0xf800000, v23
	v_pk_fma_f32 v[18:19], v[20:21], s[12:13], 0 op_sel_hi:[1,0,0]
	s_add_co_i32 s13, s13, -2
	s_delay_alu instid0(SALU_CYCLE_1) | instskip(NEXT) | instid1(VALU_DEP_1)
	s_cmp_lg_u32 s13, 0
	v_pk_mul_f32 v[18:19], v[18:19], v[18:19]
	s_delay_alu instid0(VALU_DEP_1) | instskip(NEXT) | instid1(VALU_DEP_1)
	v_add_f32_e32 v18, v18, v19
	v_dual_mul_f32 v20, 0x4f800000, v23 :: v_dual_mul_f32 v21, 0x4f800000, v18
	s_delay_alu instid0(VALU_DEP_1) | instskip(SKIP_1) | instid1(VALU_DEP_2)
	v_cndmask_b32_e32 v20, v23, v20, vcc_lo
	v_cmp_gt_f32_e64 s9, 0xf800000, v18
	v_sqrt_f32_e32 v19, v20
	v_nop
	s_delay_alu instid0(TRANS32_DEP_1) | instskip(NEXT) | instid1(VALU_DEP_1)
	v_dual_add_nc_u32 v23, -1, v19 :: v_dual_cndmask_b32 v18, v18, v21, s9
	v_dual_add_nc_u32 v21, 1, v19 :: v_dual_fma_f32 v24, -v23, v19, v20
	s_delay_alu instid0(VALU_DEP_2) | instskip(NEXT) | instid1(VALU_DEP_1)
	v_sqrt_f32_e32 v25, v18
	v_fma_f32 v26, -v21, v19, v20
	s_delay_alu instid0(VALU_DEP_2)
	v_cmp_ge_f32_e64 s10, 0, v24
	s_delay_alu instid0(TRANS32_DEP_1) | instid1(VALU_DEP_1)
	v_dual_cndmask_b32 v19, v19, v23, s10 :: v_dual_add_nc_u32 v23, -1, v25
	s_delay_alu instid0(VALU_DEP_3) | instskip(NEXT) | instid1(VALU_DEP_1)
	v_cmp_lt_f32_e64 s10, 0, v26
	v_cndmask_b32_e64 v19, v19, v21, s10
	s_delay_alu instid0(VALU_DEP_3) | instskip(NEXT) | instid1(VALU_DEP_1)
	v_dual_add_nc_u32 v21, 1, v25 :: v_dual_fma_f32 v24, -v23, v25, v18
	v_fma_f32 v27, -v21, v25, v18
	s_delay_alu instid0(VALU_DEP_2) | instskip(NEXT) | instid1(VALU_DEP_1)
	v_cmp_ge_f32_e64 s10, 0, v24
	v_cndmask_b32_e64 v23, v25, v23, s10
	v_mul_f32_e32 v26, 0x37800000, v19
	s_delay_alu instid0(VALU_DEP_4) | instskip(NEXT) | instid1(VALU_DEP_1)
	v_cmp_lt_f32_e64 s10, 0, v27
	v_cndmask_b32_e64 v21, v23, v21, s10
	s_delay_alu instid0(VALU_DEP_3) | instskip(SKIP_1) | instid1(VALU_DEP_2)
	v_cndmask_b32_e32 v19, v19, v26, vcc_lo
	v_cmp_class_f32_e64 vcc_lo, v20, 0x260
	v_cndmask_b32_e32 v19, v19, v20, vcc_lo
	s_delay_alu instid0(VALU_DEP_1) | instskip(SKIP_2) | instid1(VALU_DEP_2)
	v_cmp_nge_f32_e32 vcc_lo, 1.0, v19
	v_dual_cndmask_b32 v7, v22, v7 :: v_dual_mul_f32 v20, 0x37800000, v21
	v_cmp_class_f32_e64 vcc_lo, v18, 0x260
	v_dual_cndmask_b32 v19, v21, v20, s9 :: v_dual_add_f32 v20, 1.0, v7
	s_delay_alu instid0(VALU_DEP_1) | instskip(NEXT) | instid1(VALU_DEP_1)
	v_cndmask_b32_e32 v18, v19, v18, vcc_lo
	v_cmp_nge_f32_e32 vcc_lo, 1.0, v18
	s_delay_alu instid0(VALU_DEP_3)
	v_cndmask_b32_e32 v7, v20, v7, vcc_lo
	s_cbranch_scc1 .LBB27_286
; %bb.287:
	s_delay_alu instid0(VALU_DEP_1) | instskip(NEXT) | instid1(VALU_DEP_1)
	v_mul_f32_e32 v7, 4.0, v7
	v_div_scale_f32 v17, null, 0x461c4000, 0x461c4000, v7
	s_delay_alu instid0(VALU_DEP_1) | instskip(SKIP_1) | instid1(TRANS32_DEP_1)
	v_rcp_f32_e32 v18, v17
	v_nop
	v_fma_f32 v19, -v17, v18, 1.0
	s_delay_alu instid0(VALU_DEP_1) | instskip(SKIP_1) | instid1(VALU_DEP_1)
	v_fmac_f32_e32 v18, v19, v18
	v_div_scale_f32 v19, vcc_lo, v7, 0x461c4000, v7
	v_mul_f32_e32 v20, v19, v18
	s_delay_alu instid0(VALU_DEP_1) | instskip(NEXT) | instid1(VALU_DEP_1)
	v_fma_f32 v21, -v17, v20, v19
	v_fmac_f32_e32 v20, v21, v18
	s_delay_alu instid0(VALU_DEP_1) | instskip(NEXT) | instid1(VALU_DEP_1)
	v_fma_f32 v17, -v17, v20, v19
	v_div_fmas_f32 v17, v17, v18, v20
	s_delay_alu instid0(VALU_DEP_1)
	v_div_fixup_f32 v7, v17, 0x461c4000, v7
.LBB27_288:
	s_or_b32 exec_lo, exec_lo, s11
	v_or_b32_e32 v17, 0x800, v0
	s_delay_alu instid0(VALU_DEP_1)
	v_cmp_gt_u32_e64 s9, s21, v17
	s_and_saveexec_b32 s13, s9
	s_cbranch_execz .LBB27_292
; %bb.289:
	v_add_nc_u32_e32 v10, s19, v17
	s_movk_i32 s14, 0x2710
	s_brev_b32 s12, 12
	s_delay_alu instid0(VALU_DEP_1) | instskip(NEXT) | instid1(VALU_DEP_1)
	v_lshlrev_b32_e32 v17, 12, v10
	v_add3_u32 v10, v10, v17, 0x7ed55d16
	s_delay_alu instid0(VALU_DEP_1) | instskip(NEXT) | instid1(VALU_DEP_1)
	v_lshrrev_b32_e32 v17, 19, v10
	v_xor3_b32 v10, v10, v17, 0xc761c23c
	s_delay_alu instid0(VALU_DEP_1) | instskip(NEXT) | instid1(VALU_DEP_1)
	v_lshl_add_u32 v10, v10, 5, v10
	v_add_nc_u32_e32 v17, 0xe9f8cc1d, v10
	v_lshl_add_u32 v10, v10, 9, 0xaccf6200
	s_delay_alu instid0(VALU_DEP_1) | instskip(NEXT) | instid1(VALU_DEP_1)
	v_xor_b32_e32 v10, v17, v10
	v_lshlrev_b32_e32 v17, 3, v10
	s_delay_alu instid0(VALU_DEP_1) | instskip(NEXT) | instid1(VALU_DEP_1)
	v_add3_u32 v10, v10, v17, 0xfd7046c5
	v_lshrrev_b32_e32 v17, 16, v10
	s_delay_alu instid0(VALU_DEP_1) | instskip(NEXT) | instid1(VALU_DEP_1)
	v_xor3_b32 v10, v10, v17, 0xb55a4f09
	v_mul_hi_u32 v17, v10, 3
	s_delay_alu instid0(VALU_DEP_1) | instskip(NEXT) | instid1(VALU_DEP_1)
	v_sub_nc_u32_e32 v18, v10, v17
	v_lshrrev_b32_e32 v18, 1, v18
	s_delay_alu instid0(VALU_DEP_1) | instskip(NEXT) | instid1(VALU_DEP_1)
	v_add_nc_u32_e32 v17, v18, v17
	v_lshrrev_b32_e32 v17, 30, v17
	s_delay_alu instid0(VALU_DEP_1) | instskip(NEXT) | instid1(VALU_DEP_1)
	v_mul_lo_u32 v17, 0x7fffffff, v17
	v_sub_nc_u32_e32 v10, v10, v17
	s_delay_alu instid0(VALU_DEP_1)
	v_max_u32_e32 v17, 1, v10
	v_mov_b32_e32 v10, 0
.LBB27_290:                             ; =>This Inner Loop Header: Depth=1
	s_delay_alu instid0(VALU_DEP_2) | instskip(SKIP_1) | instid1(SALU_CYCLE_1)
	v_mul_hi_u32 v18, 0xbc8f1391, v17
	s_add_co_i32 s14, s14, -2
	s_cmp_lg_u32 s14, 0
	s_delay_alu instid0(VALU_DEP_1) | instskip(NEXT) | instid1(VALU_DEP_1)
	v_lshrrev_b32_e32 v18, 15, v18
	v_mul_u32_u24_e32 v19, 0xadc8, v18
	s_delay_alu instid0(VALU_DEP_1) | instskip(SKIP_1) | instid1(VALU_DEP_2)
	v_sub_nc_u32_e32 v17, v17, v19
	v_mul_u32_u24_e32 v18, 0xd47, v18
	v_mul_lo_u32 v17, 0xbc8f, v17
	s_delay_alu instid0(VALU_DEP_2) | instskip(SKIP_1) | instid1(VALU_DEP_3)
	v_xor_b32_e32 v19, 0x7fffffff, v18
	v_sub_nc_u32_e32 v20, 0, v18
	v_cmp_lt_u32_e32 vcc_lo, v17, v18
	s_delay_alu instid0(VALU_DEP_2) | instskip(NEXT) | instid1(VALU_DEP_1)
	v_cndmask_b32_e32 v18, v20, v19, vcc_lo
	v_add_nc_u32_e32 v17, v18, v17
	s_delay_alu instid0(VALU_DEP_1) | instskip(NEXT) | instid1(VALU_DEP_1)
	v_mul_hi_u32 v18, 0xbc8f1391, v17
	v_lshrrev_b32_e32 v18, 15, v18
	s_delay_alu instid0(VALU_DEP_1) | instskip(SKIP_1) | instid1(VALU_DEP_2)
	v_mul_u32_u24_e32 v19, 0xadc8, v18
	v_mul_u32_u24_e32 v18, 0xd47, v18
	v_sub_nc_u32_e32 v19, v17, v19
	s_delay_alu instid0(VALU_DEP_2) | instskip(SKIP_1) | instid1(VALU_DEP_3)
	v_xor_b32_e32 v20, 0x7fffffff, v18
	v_add_nc_u32_e32 v17, -1, v17
	v_mul_lo_u32 v19, 0xbc8f, v19
	v_sub_nc_u32_e32 v21, 0, v18
	s_delay_alu instid0(VALU_DEP_2) | instskip(NEXT) | instid1(VALU_DEP_2)
	v_cmp_lt_u32_e32 vcc_lo, v19, v18
	v_cndmask_b32_e32 v18, v21, v20, vcc_lo
	s_delay_alu instid0(VALU_DEP_1) | instskip(NEXT) | instid1(VALU_DEP_1)
	v_add_nc_u32_e32 v19, v18, v19
	v_mul_hi_u32 v18, 0xbc8f1391, v19
	s_delay_alu instid0(VALU_DEP_1) | instskip(NEXT) | instid1(VALU_DEP_1)
	v_lshrrev_b32_e32 v18, 15, v18
	v_mul_u32_u24_e32 v20, 0xadc8, v18
	v_mul_u32_u24_e32 v18, 0xd47, v18
	s_delay_alu instid0(VALU_DEP_2) | instskip(NEXT) | instid1(VALU_DEP_2)
	v_sub_nc_u32_e32 v20, v19, v20
	v_xor_b32_e32 v21, 0x7fffffff, v18
	s_delay_alu instid0(VALU_DEP_2) | instskip(SKIP_1) | instid1(VALU_DEP_2)
	v_mul_lo_u32 v20, 0xbc8f, v20
	v_sub_nc_u32_e32 v22, 0, v18
	v_cmp_lt_u32_e32 vcc_lo, v20, v18
	s_delay_alu instid0(VALU_DEP_2) | instskip(NEXT) | instid1(VALU_DEP_1)
	v_dual_cndmask_b32 v18, v22, v21, vcc_lo :: v_dual_add_f32 v22, 1.0, v10
	v_add_nc_u32_e32 v20, v18, v20
	s_delay_alu instid0(VALU_DEP_1) | instskip(NEXT) | instid1(VALU_DEP_1)
	v_mul_hi_u32 v18, 0xbc8f1391, v20
	v_lshrrev_b32_e32 v18, 15, v18
	s_delay_alu instid0(VALU_DEP_1) | instskip(SKIP_2) | instid1(VALU_DEP_3)
	v_mul_u32_u24_e32 v21, 0xadc8, v18
	v_mul_u32_u24_e32 v23, 0xd47, v18
	v_cvt_f32_u32_e32 v18, v17
	v_sub_nc_u32_e32 v21, v20, v21
	s_delay_alu instid0(VALU_DEP_3) | instskip(SKIP_1) | instid1(VALU_DEP_3)
	v_xor_b32_e32 v17, 0x7fffffff, v23
	v_dual_sub_nc_u32 v24, 0, v23 :: v_dual_add_nc_u32 v20, -1, v20
	v_mul_lo_u32 v21, 0xbc8f, v21
	s_delay_alu instid0(VALU_DEP_2) | instskip(NEXT) | instid1(VALU_DEP_2)
	v_cvt_f32_u32_e32 v20, v20
	v_cmp_lt_u32_e32 vcc_lo, v21, v23
	s_delay_alu instid0(VALU_DEP_4) | instskip(NEXT) | instid1(VALU_DEP_1)
	v_dual_add_nc_u32 v19, -1, v19 :: v_dual_cndmask_b32 v17, v24, v17, vcc_lo
	v_cvt_f32_u32_e32 v19, v19
	s_delay_alu instid0(VALU_DEP_2) | instskip(NEXT) | instid1(VALU_DEP_2)
	v_add_nc_u32_e32 v17, v17, v21
	v_pk_fma_f32 v[18:19], v[18:19], s[12:13], 0 op_sel_hi:[1,0,0]
	s_delay_alu instid0(VALU_DEP_1) | instskip(NEXT) | instid1(VALU_DEP_1)
	v_pk_mul_f32 v[18:19], v[18:19], v[18:19]
	v_dual_add_nc_u32 v21, -1, v17 :: v_dual_add_f32 v23, v18, v19
	s_delay_alu instid0(VALU_DEP_1) | instskip(NEXT) | instid1(VALU_DEP_2)
	v_cvt_f32_u32_e32 v21, v21
	v_cmp_gt_f32_e32 vcc_lo, 0xf800000, v23
	s_delay_alu instid0(VALU_DEP_2) | instskip(NEXT) | instid1(VALU_DEP_1)
	v_pk_fma_f32 v[18:19], v[20:21], s[12:13], 0 op_sel_hi:[1,0,0]
	v_pk_mul_f32 v[18:19], v[18:19], v[18:19]
	s_delay_alu instid0(VALU_DEP_1) | instskip(NEXT) | instid1(VALU_DEP_1)
	v_add_f32_e32 v18, v18, v19
	v_dual_mul_f32 v20, 0x4f800000, v23 :: v_dual_mul_f32 v21, 0x4f800000, v18
	s_delay_alu instid0(VALU_DEP_1) | instskip(SKIP_1) | instid1(VALU_DEP_2)
	v_cndmask_b32_e32 v20, v23, v20, vcc_lo
	v_cmp_gt_f32_e64 s10, 0xf800000, v18
	v_sqrt_f32_e32 v19, v20
	v_nop
	s_delay_alu instid0(TRANS32_DEP_1) | instskip(NEXT) | instid1(VALU_DEP_1)
	v_dual_add_nc_u32 v23, -1, v19 :: v_dual_cndmask_b32 v18, v18, v21, s10
	v_dual_add_nc_u32 v21, 1, v19 :: v_dual_fma_f32 v24, -v23, v19, v20
	s_delay_alu instid0(VALU_DEP_2) | instskip(NEXT) | instid1(VALU_DEP_1)
	v_sqrt_f32_e32 v25, v18
	v_fma_f32 v26, -v21, v19, v20
	s_delay_alu instid0(VALU_DEP_2)
	v_cmp_ge_f32_e64 s11, 0, v24
	s_delay_alu instid0(TRANS32_DEP_1) | instid1(VALU_DEP_1)
	v_dual_cndmask_b32 v19, v19, v23, s11 :: v_dual_add_nc_u32 v23, -1, v25
	s_delay_alu instid0(VALU_DEP_3) | instskip(NEXT) | instid1(VALU_DEP_1)
	v_cmp_lt_f32_e64 s11, 0, v26
	v_cndmask_b32_e64 v19, v19, v21, s11
	s_delay_alu instid0(VALU_DEP_3) | instskip(NEXT) | instid1(VALU_DEP_1)
	v_dual_add_nc_u32 v21, 1, v25 :: v_dual_fma_f32 v24, -v23, v25, v18
	v_fma_f32 v27, -v21, v25, v18
	s_delay_alu instid0(VALU_DEP_2) | instskip(NEXT) | instid1(VALU_DEP_1)
	v_cmp_ge_f32_e64 s11, 0, v24
	v_cndmask_b32_e64 v23, v25, v23, s11
	v_mul_f32_e32 v26, 0x37800000, v19
	s_delay_alu instid0(VALU_DEP_4) | instskip(NEXT) | instid1(VALU_DEP_1)
	v_cmp_lt_f32_e64 s11, 0, v27
	v_cndmask_b32_e64 v21, v23, v21, s11
	s_delay_alu instid0(VALU_DEP_3) | instskip(SKIP_1) | instid1(VALU_DEP_2)
	v_cndmask_b32_e32 v19, v19, v26, vcc_lo
	v_cmp_class_f32_e64 vcc_lo, v20, 0x260
	v_cndmask_b32_e32 v19, v19, v20, vcc_lo
	s_delay_alu instid0(VALU_DEP_1) | instskip(SKIP_3) | instid1(VALU_DEP_2)
	v_cmp_nge_f32_e32 vcc_lo, 1.0, v19
	v_cndmask_b32_e32 v10, v22, v10, vcc_lo
	v_mul_f32_e32 v20, 0x37800000, v21
	v_cmp_class_f32_e64 vcc_lo, v18, 0x260
	v_dual_cndmask_b32 v19, v21, v20, s10 :: v_dual_add_f32 v20, 1.0, v10
	s_delay_alu instid0(VALU_DEP_1) | instskip(NEXT) | instid1(VALU_DEP_1)
	v_cndmask_b32_e32 v18, v19, v18, vcc_lo
	v_cmp_nge_f32_e32 vcc_lo, 1.0, v18
	s_delay_alu instid0(VALU_DEP_3)
	v_cndmask_b32_e32 v10, v20, v10, vcc_lo
	s_cbranch_scc1 .LBB27_290
; %bb.291:
	s_delay_alu instid0(VALU_DEP_1) | instskip(NEXT) | instid1(VALU_DEP_1)
	v_mul_f32_e32 v10, 4.0, v10
	v_div_scale_f32 v17, null, 0x461c4000, 0x461c4000, v10
	s_delay_alu instid0(VALU_DEP_1) | instskip(SKIP_1) | instid1(TRANS32_DEP_1)
	v_rcp_f32_e32 v18, v17
	v_nop
	v_fma_f32 v19, -v17, v18, 1.0
	s_delay_alu instid0(VALU_DEP_1) | instskip(SKIP_1) | instid1(VALU_DEP_1)
	v_fmac_f32_e32 v18, v19, v18
	v_div_scale_f32 v19, vcc_lo, v10, 0x461c4000, v10
	v_mul_f32_e32 v20, v19, v18
	s_delay_alu instid0(VALU_DEP_1) | instskip(NEXT) | instid1(VALU_DEP_1)
	v_fma_f32 v21, -v17, v20, v19
	v_fmac_f32_e32 v20, v21, v18
	s_delay_alu instid0(VALU_DEP_1) | instskip(NEXT) | instid1(VALU_DEP_1)
	v_fma_f32 v17, -v17, v20, v19
	v_div_fmas_f32 v17, v17, v18, v20
	s_delay_alu instid0(VALU_DEP_1)
	v_div_fixup_f32 v10, v17, 0x461c4000, v10
.LBB27_292:
	s_or_b32 exec_lo, exec_lo, s13
	v_or_b32_e32 v17, 0x900, v0
	s_delay_alu instid0(VALU_DEP_1)
	v_cmp_gt_u32_e64 s10, s21, v17
	s_and_saveexec_b32 s13, s10
	s_cbranch_execz .LBB27_296
; %bb.293:
	v_add_nc_u32_e32 v9, s19, v17
	s_movk_i32 s15, 0x2710
	s_brev_b32 s14, 12
	s_delay_alu instid0(VALU_DEP_1) | instskip(NEXT) | instid1(VALU_DEP_1)
	v_lshlrev_b32_e32 v17, 12, v9
	v_add3_u32 v9, v9, v17, 0x7ed55d16
	s_delay_alu instid0(VALU_DEP_1) | instskip(NEXT) | instid1(VALU_DEP_1)
	v_lshrrev_b32_e32 v17, 19, v9
	v_xor3_b32 v9, v9, v17, 0xc761c23c
	s_delay_alu instid0(VALU_DEP_1) | instskip(NEXT) | instid1(VALU_DEP_1)
	v_lshl_add_u32 v9, v9, 5, v9
	v_add_nc_u32_e32 v17, 0xe9f8cc1d, v9
	v_lshl_add_u32 v9, v9, 9, 0xaccf6200
	s_delay_alu instid0(VALU_DEP_1) | instskip(NEXT) | instid1(VALU_DEP_1)
	v_xor_b32_e32 v9, v17, v9
	v_lshlrev_b32_e32 v17, 3, v9
	s_delay_alu instid0(VALU_DEP_1) | instskip(NEXT) | instid1(VALU_DEP_1)
	v_add3_u32 v9, v9, v17, 0xfd7046c5
	v_lshrrev_b32_e32 v17, 16, v9
	s_delay_alu instid0(VALU_DEP_1) | instskip(NEXT) | instid1(VALU_DEP_1)
	v_xor3_b32 v9, v9, v17, 0xb55a4f09
	v_mul_hi_u32 v17, v9, 3
	s_delay_alu instid0(VALU_DEP_1) | instskip(NEXT) | instid1(VALU_DEP_1)
	v_sub_nc_u32_e32 v18, v9, v17
	v_lshrrev_b32_e32 v18, 1, v18
	s_delay_alu instid0(VALU_DEP_1) | instskip(NEXT) | instid1(VALU_DEP_1)
	v_add_nc_u32_e32 v17, v18, v17
	v_lshrrev_b32_e32 v17, 30, v17
	s_delay_alu instid0(VALU_DEP_1) | instskip(NEXT) | instid1(VALU_DEP_1)
	v_mul_lo_u32 v17, 0x7fffffff, v17
	v_sub_nc_u32_e32 v9, v9, v17
	s_delay_alu instid0(VALU_DEP_1)
	v_max_u32_e32 v17, 1, v9
	v_mov_b32_e32 v9, 0
.LBB27_294:                             ; =>This Inner Loop Header: Depth=1
	s_delay_alu instid0(VALU_DEP_2) | instskip(NEXT) | instid1(VALU_DEP_1)
	v_mul_hi_u32 v18, 0xbc8f1391, v17
	v_lshrrev_b32_e32 v18, 15, v18
	s_delay_alu instid0(VALU_DEP_1) | instskip(NEXT) | instid1(VALU_DEP_1)
	v_mul_u32_u24_e32 v19, 0xadc8, v18
	v_sub_nc_u32_e32 v17, v17, v19
	v_mul_u32_u24_e32 v18, 0xd47, v18
	s_delay_alu instid0(VALU_DEP_2) | instskip(NEXT) | instid1(VALU_DEP_2)
	v_mul_lo_u32 v17, 0xbc8f, v17
	v_xor_b32_e32 v19, 0x7fffffff, v18
	v_sub_nc_u32_e32 v20, 0, v18
	s_delay_alu instid0(VALU_DEP_3) | instskip(NEXT) | instid1(VALU_DEP_2)
	v_cmp_lt_u32_e32 vcc_lo, v17, v18
	v_cndmask_b32_e32 v18, v20, v19, vcc_lo
	s_delay_alu instid0(VALU_DEP_1) | instskip(NEXT) | instid1(VALU_DEP_1)
	v_add_nc_u32_e32 v17, v18, v17
	v_mul_hi_u32 v18, 0xbc8f1391, v17
	s_delay_alu instid0(VALU_DEP_1) | instskip(NEXT) | instid1(VALU_DEP_1)
	v_lshrrev_b32_e32 v18, 15, v18
	v_mul_u32_u24_e32 v19, 0xadc8, v18
	v_mul_u32_u24_e32 v18, 0xd47, v18
	s_delay_alu instid0(VALU_DEP_2) | instskip(NEXT) | instid1(VALU_DEP_2)
	v_sub_nc_u32_e32 v19, v17, v19
	v_xor_b32_e32 v20, 0x7fffffff, v18
	v_add_nc_u32_e32 v17, -1, v17
	s_delay_alu instid0(VALU_DEP_3) | instskip(SKIP_1) | instid1(VALU_DEP_2)
	v_mul_lo_u32 v19, 0xbc8f, v19
	v_sub_nc_u32_e32 v21, 0, v18
	v_cmp_lt_u32_e32 vcc_lo, v19, v18
	s_delay_alu instid0(VALU_DEP_2) | instskip(NEXT) | instid1(VALU_DEP_1)
	v_cndmask_b32_e32 v18, v21, v20, vcc_lo
	v_add_nc_u32_e32 v19, v18, v19
	s_delay_alu instid0(VALU_DEP_1) | instskip(NEXT) | instid1(VALU_DEP_1)
	v_mul_hi_u32 v18, 0xbc8f1391, v19
	v_lshrrev_b32_e32 v18, 15, v18
	s_delay_alu instid0(VALU_DEP_1) | instskip(SKIP_1) | instid1(VALU_DEP_2)
	v_mul_u32_u24_e32 v20, 0xadc8, v18
	v_mul_u32_u24_e32 v18, 0xd47, v18
	v_sub_nc_u32_e32 v20, v19, v20
	s_delay_alu instid0(VALU_DEP_2) | instskip(NEXT) | instid1(VALU_DEP_2)
	v_xor_b32_e32 v21, 0x7fffffff, v18
	v_mul_lo_u32 v20, 0xbc8f, v20
	v_sub_nc_u32_e32 v22, 0, v18
	s_delay_alu instid0(VALU_DEP_2) | instskip(NEXT) | instid1(VALU_DEP_2)
	v_cmp_lt_u32_e32 vcc_lo, v20, v18
	v_cndmask_b32_e32 v18, v22, v21, vcc_lo
	s_delay_alu instid0(VALU_DEP_1) | instskip(NEXT) | instid1(VALU_DEP_1)
	v_dual_add_f32 v22, 1.0, v9 :: v_dual_add_nc_u32 v20, v18, v20
	v_mul_hi_u32 v18, 0xbc8f1391, v20
	s_delay_alu instid0(VALU_DEP_1) | instskip(NEXT) | instid1(VALU_DEP_1)
	v_lshrrev_b32_e32 v18, 15, v18
	v_mul_u32_u24_e32 v21, 0xadc8, v18
	v_mul_u32_u24_e32 v23, 0xd47, v18
	v_cvt_f32_u32_e32 v18, v17
	s_delay_alu instid0(VALU_DEP_3) | instskip(NEXT) | instid1(VALU_DEP_3)
	v_sub_nc_u32_e32 v21, v20, v21
	v_xor_b32_e32 v17, 0x7fffffff, v23
	v_dual_sub_nc_u32 v24, 0, v23 :: v_dual_add_nc_u32 v20, -1, v20
	s_delay_alu instid0(VALU_DEP_3) | instskip(NEXT) | instid1(VALU_DEP_2)
	v_mul_lo_u32 v21, 0xbc8f, v21
	v_cvt_f32_u32_e32 v20, v20
	s_delay_alu instid0(VALU_DEP_2) | instskip(NEXT) | instid1(VALU_DEP_4)
	v_cmp_lt_u32_e32 vcc_lo, v21, v23
	v_dual_add_nc_u32 v19, -1, v19 :: v_dual_cndmask_b32 v17, v24, v17, vcc_lo
	s_delay_alu instid0(VALU_DEP_1) | instskip(NEXT) | instid1(VALU_DEP_2)
	v_cvt_f32_u32_e32 v19, v19
	v_add_nc_u32_e32 v17, v17, v21
	s_delay_alu instid0(VALU_DEP_2) | instskip(NEXT) | instid1(VALU_DEP_1)
	v_pk_fma_f32 v[18:19], v[18:19], s[14:15], 0 op_sel_hi:[1,0,0]
	v_pk_mul_f32 v[18:19], v[18:19], v[18:19]
	s_delay_alu instid0(VALU_DEP_1) | instskip(NEXT) | instid1(VALU_DEP_1)
	v_dual_add_nc_u32 v21, -1, v17 :: v_dual_add_f32 v23, v18, v19
	v_cvt_f32_u32_e32 v21, v21
	s_delay_alu instid0(VALU_DEP_2) | instskip(NEXT) | instid1(VALU_DEP_2)
	v_cmp_gt_f32_e32 vcc_lo, 0xf800000, v23
	v_pk_fma_f32 v[18:19], v[20:21], s[14:15], 0 op_sel_hi:[1,0,0]
	s_add_co_i32 s15, s15, -2
	s_delay_alu instid0(SALU_CYCLE_1) | instskip(NEXT) | instid1(VALU_DEP_1)
	s_cmp_lg_u32 s15, 0
	v_pk_mul_f32 v[18:19], v[18:19], v[18:19]
	s_delay_alu instid0(VALU_DEP_1) | instskip(NEXT) | instid1(VALU_DEP_1)
	v_add_f32_e32 v18, v18, v19
	v_dual_mul_f32 v20, 0x4f800000, v23 :: v_dual_mul_f32 v21, 0x4f800000, v18
	s_delay_alu instid0(VALU_DEP_1) | instskip(SKIP_1) | instid1(VALU_DEP_2)
	v_cndmask_b32_e32 v20, v23, v20, vcc_lo
	v_cmp_gt_f32_e64 s11, 0xf800000, v18
	v_sqrt_f32_e32 v19, v20
	v_nop
	s_delay_alu instid0(TRANS32_DEP_1) | instskip(NEXT) | instid1(VALU_DEP_1)
	v_dual_add_nc_u32 v23, -1, v19 :: v_dual_cndmask_b32 v18, v18, v21, s11
	v_dual_add_nc_u32 v21, 1, v19 :: v_dual_fma_f32 v24, -v23, v19, v20
	s_delay_alu instid0(VALU_DEP_2) | instskip(NEXT) | instid1(VALU_DEP_1)
	v_sqrt_f32_e32 v25, v18
	v_fma_f32 v26, -v21, v19, v20
	s_delay_alu instid0(VALU_DEP_2)
	v_cmp_ge_f32_e64 s12, 0, v24
	s_delay_alu instid0(TRANS32_DEP_1) | instid1(VALU_DEP_1)
	v_dual_cndmask_b32 v19, v19, v23, s12 :: v_dual_add_nc_u32 v23, -1, v25
	s_delay_alu instid0(VALU_DEP_3) | instskip(NEXT) | instid1(VALU_DEP_1)
	v_cmp_lt_f32_e64 s12, 0, v26
	v_cndmask_b32_e64 v19, v19, v21, s12
	s_delay_alu instid0(VALU_DEP_3) | instskip(NEXT) | instid1(VALU_DEP_1)
	v_dual_add_nc_u32 v21, 1, v25 :: v_dual_fma_f32 v24, -v23, v25, v18
	v_fma_f32 v27, -v21, v25, v18
	s_delay_alu instid0(VALU_DEP_2) | instskip(NEXT) | instid1(VALU_DEP_1)
	v_cmp_ge_f32_e64 s12, 0, v24
	v_cndmask_b32_e64 v23, v25, v23, s12
	v_mul_f32_e32 v26, 0x37800000, v19
	s_delay_alu instid0(VALU_DEP_4) | instskip(NEXT) | instid1(VALU_DEP_1)
	v_cmp_lt_f32_e64 s12, 0, v27
	v_cndmask_b32_e64 v21, v23, v21, s12
	s_delay_alu instid0(VALU_DEP_3) | instskip(SKIP_1) | instid1(VALU_DEP_2)
	v_cndmask_b32_e32 v19, v19, v26, vcc_lo
	v_cmp_class_f32_e64 vcc_lo, v20, 0x260
	v_dual_cndmask_b32 v19, v19, v20 :: v_dual_mul_f32 v20, 0x37800000, v21
	s_delay_alu instid0(VALU_DEP_1) | instskip(NEXT) | instid1(VALU_DEP_2)
	v_cmp_nge_f32_e32 vcc_lo, 1.0, v19
	v_dual_cndmask_b32 v19, v21, v20, s11 :: v_dual_cndmask_b32 v9, v22, v9, vcc_lo
	v_cmp_class_f32_e64 vcc_lo, v18, 0x260
	s_delay_alu instid0(VALU_DEP_1) | instskip(NEXT) | instid1(VALU_DEP_1)
	v_dual_add_f32 v20, 1.0, v9 :: v_dual_cndmask_b32 v18, v19, v18, vcc_lo
	v_cmp_nge_f32_e32 vcc_lo, 1.0, v18
	s_delay_alu instid0(VALU_DEP_2)
	v_cndmask_b32_e32 v9, v20, v9, vcc_lo
	s_cbranch_scc1 .LBB27_294
; %bb.295:
	s_delay_alu instid0(VALU_DEP_1) | instskip(NEXT) | instid1(VALU_DEP_1)
	v_mul_f32_e32 v9, 4.0, v9
	v_div_scale_f32 v17, null, 0x461c4000, 0x461c4000, v9
	s_delay_alu instid0(VALU_DEP_1) | instskip(SKIP_1) | instid1(TRANS32_DEP_1)
	v_rcp_f32_e32 v18, v17
	v_nop
	v_fma_f32 v19, -v17, v18, 1.0
	s_delay_alu instid0(VALU_DEP_1) | instskip(SKIP_1) | instid1(VALU_DEP_1)
	v_fmac_f32_e32 v18, v19, v18
	v_div_scale_f32 v19, vcc_lo, v9, 0x461c4000, v9
	v_mul_f32_e32 v20, v19, v18
	s_delay_alu instid0(VALU_DEP_1) | instskip(NEXT) | instid1(VALU_DEP_1)
	v_fma_f32 v21, -v17, v20, v19
	v_fmac_f32_e32 v20, v21, v18
	s_delay_alu instid0(VALU_DEP_1) | instskip(NEXT) | instid1(VALU_DEP_1)
	v_fma_f32 v17, -v17, v20, v19
	v_div_fmas_f32 v17, v17, v18, v20
	s_delay_alu instid0(VALU_DEP_1)
	v_div_fixup_f32 v9, v17, 0x461c4000, v9
.LBB27_296:
	s_or_b32 exec_lo, exec_lo, s13
	v_or_b32_e32 v17, 0xa00, v0
	s_delay_alu instid0(VALU_DEP_1)
	v_cmp_gt_u32_e64 s11, s21, v17
	s_and_saveexec_b32 s15, s11
	s_cbranch_execz .LBB27_300
; %bb.297:
	v_add_nc_u32_e32 v12, s19, v17
	s_movk_i32 s16, 0x2710
	s_brev_b32 s14, 12
	s_delay_alu instid0(VALU_DEP_1) | instskip(NEXT) | instid1(VALU_DEP_1)
	v_lshlrev_b32_e32 v17, 12, v12
	v_add3_u32 v12, v12, v17, 0x7ed55d16
	s_delay_alu instid0(VALU_DEP_1) | instskip(NEXT) | instid1(VALU_DEP_1)
	v_lshrrev_b32_e32 v17, 19, v12
	v_xor3_b32 v12, v12, v17, 0xc761c23c
	s_delay_alu instid0(VALU_DEP_1) | instskip(NEXT) | instid1(VALU_DEP_1)
	v_lshl_add_u32 v12, v12, 5, v12
	v_add_nc_u32_e32 v17, 0xe9f8cc1d, v12
	v_lshl_add_u32 v12, v12, 9, 0xaccf6200
	s_delay_alu instid0(VALU_DEP_1) | instskip(NEXT) | instid1(VALU_DEP_1)
	v_xor_b32_e32 v12, v17, v12
	v_lshlrev_b32_e32 v17, 3, v12
	s_delay_alu instid0(VALU_DEP_1) | instskip(NEXT) | instid1(VALU_DEP_1)
	v_add3_u32 v12, v12, v17, 0xfd7046c5
	v_lshrrev_b32_e32 v17, 16, v12
	s_delay_alu instid0(VALU_DEP_1) | instskip(NEXT) | instid1(VALU_DEP_1)
	v_xor3_b32 v12, v12, v17, 0xb55a4f09
	v_mul_hi_u32 v17, v12, 3
	s_delay_alu instid0(VALU_DEP_1) | instskip(NEXT) | instid1(VALU_DEP_1)
	v_sub_nc_u32_e32 v18, v12, v17
	v_lshrrev_b32_e32 v18, 1, v18
	s_delay_alu instid0(VALU_DEP_1) | instskip(NEXT) | instid1(VALU_DEP_1)
	v_add_nc_u32_e32 v17, v18, v17
	v_lshrrev_b32_e32 v17, 30, v17
	s_delay_alu instid0(VALU_DEP_1) | instskip(NEXT) | instid1(VALU_DEP_1)
	v_mul_lo_u32 v17, 0x7fffffff, v17
	v_sub_nc_u32_e32 v12, v12, v17
	s_delay_alu instid0(VALU_DEP_1)
	v_max_u32_e32 v17, 1, v12
	v_mov_b32_e32 v12, 0
.LBB27_298:                             ; =>This Inner Loop Header: Depth=1
	s_delay_alu instid0(VALU_DEP_2) | instskip(SKIP_1) | instid1(SALU_CYCLE_1)
	v_mul_hi_u32 v18, 0xbc8f1391, v17
	s_add_co_i32 s16, s16, -2
	s_cmp_lg_u32 s16, 0
	s_delay_alu instid0(VALU_DEP_1) | instskip(NEXT) | instid1(VALU_DEP_1)
	v_lshrrev_b32_e32 v18, 15, v18
	v_mul_u32_u24_e32 v19, 0xadc8, v18
	s_delay_alu instid0(VALU_DEP_1) | instskip(SKIP_1) | instid1(VALU_DEP_2)
	v_sub_nc_u32_e32 v17, v17, v19
	v_mul_u32_u24_e32 v18, 0xd47, v18
	v_mul_lo_u32 v17, 0xbc8f, v17
	s_delay_alu instid0(VALU_DEP_2) | instskip(SKIP_1) | instid1(VALU_DEP_3)
	v_xor_b32_e32 v19, 0x7fffffff, v18
	v_sub_nc_u32_e32 v20, 0, v18
	v_cmp_lt_u32_e32 vcc_lo, v17, v18
	s_delay_alu instid0(VALU_DEP_2) | instskip(NEXT) | instid1(VALU_DEP_1)
	v_cndmask_b32_e32 v18, v20, v19, vcc_lo
	v_add_nc_u32_e32 v17, v18, v17
	s_delay_alu instid0(VALU_DEP_1) | instskip(NEXT) | instid1(VALU_DEP_1)
	v_mul_hi_u32 v18, 0xbc8f1391, v17
	v_lshrrev_b32_e32 v18, 15, v18
	s_delay_alu instid0(VALU_DEP_1) | instskip(SKIP_1) | instid1(VALU_DEP_2)
	v_mul_u32_u24_e32 v19, 0xadc8, v18
	v_mul_u32_u24_e32 v18, 0xd47, v18
	v_sub_nc_u32_e32 v19, v17, v19
	s_delay_alu instid0(VALU_DEP_2) | instskip(SKIP_1) | instid1(VALU_DEP_3)
	v_xor_b32_e32 v20, 0x7fffffff, v18
	v_add_nc_u32_e32 v17, -1, v17
	v_mul_lo_u32 v19, 0xbc8f, v19
	v_sub_nc_u32_e32 v21, 0, v18
	s_delay_alu instid0(VALU_DEP_2) | instskip(NEXT) | instid1(VALU_DEP_2)
	v_cmp_lt_u32_e32 vcc_lo, v19, v18
	v_cndmask_b32_e32 v18, v21, v20, vcc_lo
	s_delay_alu instid0(VALU_DEP_1) | instskip(NEXT) | instid1(VALU_DEP_1)
	v_add_nc_u32_e32 v19, v18, v19
	v_mul_hi_u32 v18, 0xbc8f1391, v19
	s_delay_alu instid0(VALU_DEP_1) | instskip(NEXT) | instid1(VALU_DEP_1)
	v_lshrrev_b32_e32 v18, 15, v18
	v_mul_u32_u24_e32 v20, 0xadc8, v18
	v_mul_u32_u24_e32 v18, 0xd47, v18
	s_delay_alu instid0(VALU_DEP_2) | instskip(NEXT) | instid1(VALU_DEP_2)
	v_sub_nc_u32_e32 v20, v19, v20
	v_xor_b32_e32 v21, 0x7fffffff, v18
	s_delay_alu instid0(VALU_DEP_2) | instskip(SKIP_1) | instid1(VALU_DEP_2)
	v_mul_lo_u32 v20, 0xbc8f, v20
	v_sub_nc_u32_e32 v22, 0, v18
	v_cmp_lt_u32_e32 vcc_lo, v20, v18
	s_delay_alu instid0(VALU_DEP_2) | instskip(NEXT) | instid1(VALU_DEP_1)
	v_dual_cndmask_b32 v18, v22, v21, vcc_lo :: v_dual_add_f32 v22, 1.0, v12
	v_add_nc_u32_e32 v20, v18, v20
	s_delay_alu instid0(VALU_DEP_1) | instskip(NEXT) | instid1(VALU_DEP_1)
	v_mul_hi_u32 v18, 0xbc8f1391, v20
	v_lshrrev_b32_e32 v18, 15, v18
	s_delay_alu instid0(VALU_DEP_1) | instskip(SKIP_2) | instid1(VALU_DEP_3)
	v_mul_u32_u24_e32 v21, 0xadc8, v18
	v_mul_u32_u24_e32 v23, 0xd47, v18
	v_cvt_f32_u32_e32 v18, v17
	v_sub_nc_u32_e32 v21, v20, v21
	s_delay_alu instid0(VALU_DEP_3) | instskip(SKIP_1) | instid1(VALU_DEP_3)
	v_xor_b32_e32 v17, 0x7fffffff, v23
	v_dual_sub_nc_u32 v24, 0, v23 :: v_dual_add_nc_u32 v20, -1, v20
	v_mul_lo_u32 v21, 0xbc8f, v21
	s_delay_alu instid0(VALU_DEP_2) | instskip(NEXT) | instid1(VALU_DEP_2)
	v_cvt_f32_u32_e32 v20, v20
	v_cmp_lt_u32_e32 vcc_lo, v21, v23
	s_delay_alu instid0(VALU_DEP_4) | instskip(NEXT) | instid1(VALU_DEP_1)
	v_dual_add_nc_u32 v19, -1, v19 :: v_dual_cndmask_b32 v17, v24, v17, vcc_lo
	v_cvt_f32_u32_e32 v19, v19
	s_delay_alu instid0(VALU_DEP_2) | instskip(NEXT) | instid1(VALU_DEP_2)
	v_add_nc_u32_e32 v17, v17, v21
	v_pk_fma_f32 v[18:19], v[18:19], s[14:15], 0 op_sel_hi:[1,0,0]
	s_delay_alu instid0(VALU_DEP_1) | instskip(NEXT) | instid1(VALU_DEP_1)
	v_pk_mul_f32 v[18:19], v[18:19], v[18:19]
	v_dual_add_nc_u32 v21, -1, v17 :: v_dual_add_f32 v23, v18, v19
	s_delay_alu instid0(VALU_DEP_1) | instskip(NEXT) | instid1(VALU_DEP_2)
	v_cvt_f32_u32_e32 v21, v21
	v_cmp_gt_f32_e32 vcc_lo, 0xf800000, v23
	s_delay_alu instid0(VALU_DEP_2) | instskip(NEXT) | instid1(VALU_DEP_1)
	v_pk_fma_f32 v[18:19], v[20:21], s[14:15], 0 op_sel_hi:[1,0,0]
	v_pk_mul_f32 v[18:19], v[18:19], v[18:19]
	s_delay_alu instid0(VALU_DEP_1) | instskip(NEXT) | instid1(VALU_DEP_1)
	v_add_f32_e32 v18, v18, v19
	v_dual_mul_f32 v20, 0x4f800000, v23 :: v_dual_mul_f32 v21, 0x4f800000, v18
	s_delay_alu instid0(VALU_DEP_1) | instskip(SKIP_1) | instid1(VALU_DEP_2)
	v_cndmask_b32_e32 v20, v23, v20, vcc_lo
	v_cmp_gt_f32_e64 s12, 0xf800000, v18
	v_sqrt_f32_e32 v19, v20
	v_nop
	s_delay_alu instid0(TRANS32_DEP_1) | instskip(NEXT) | instid1(VALU_DEP_1)
	v_dual_add_nc_u32 v23, -1, v19 :: v_dual_cndmask_b32 v18, v18, v21, s12
	v_dual_add_nc_u32 v21, 1, v19 :: v_dual_fma_f32 v24, -v23, v19, v20
	s_delay_alu instid0(VALU_DEP_2) | instskip(NEXT) | instid1(VALU_DEP_1)
	v_sqrt_f32_e32 v25, v18
	v_fma_f32 v26, -v21, v19, v20
	s_delay_alu instid0(VALU_DEP_2)
	v_cmp_ge_f32_e64 s13, 0, v24
	s_delay_alu instid0(TRANS32_DEP_1) | instid1(VALU_DEP_1)
	v_dual_cndmask_b32 v19, v19, v23, s13 :: v_dual_add_nc_u32 v23, -1, v25
	s_delay_alu instid0(VALU_DEP_3) | instskip(NEXT) | instid1(VALU_DEP_1)
	v_cmp_lt_f32_e64 s13, 0, v26
	v_cndmask_b32_e64 v19, v19, v21, s13
	s_delay_alu instid0(VALU_DEP_3) | instskip(NEXT) | instid1(VALU_DEP_1)
	v_dual_add_nc_u32 v21, 1, v25 :: v_dual_fma_f32 v24, -v23, v25, v18
	v_fma_f32 v27, -v21, v25, v18
	s_delay_alu instid0(VALU_DEP_2) | instskip(NEXT) | instid1(VALU_DEP_1)
	v_cmp_ge_f32_e64 s13, 0, v24
	v_cndmask_b32_e64 v23, v25, v23, s13
	v_mul_f32_e32 v26, 0x37800000, v19
	s_delay_alu instid0(VALU_DEP_4) | instskip(NEXT) | instid1(VALU_DEP_1)
	v_cmp_lt_f32_e64 s13, 0, v27
	v_cndmask_b32_e64 v21, v23, v21, s13
	s_delay_alu instid0(VALU_DEP_3) | instskip(SKIP_1) | instid1(VALU_DEP_2)
	v_cndmask_b32_e32 v19, v19, v26, vcc_lo
	v_cmp_class_f32_e64 vcc_lo, v20, 0x260
	v_cndmask_b32_e32 v19, v19, v20, vcc_lo
	s_delay_alu instid0(VALU_DEP_1) | instskip(SKIP_3) | instid1(VALU_DEP_2)
	v_cmp_nge_f32_e32 vcc_lo, 1.0, v19
	v_cndmask_b32_e32 v12, v22, v12, vcc_lo
	v_mul_f32_e32 v20, 0x37800000, v21
	v_cmp_class_f32_e64 vcc_lo, v18, 0x260
	v_cndmask_b32_e64 v19, v21, v20, s12
	s_delay_alu instid0(VALU_DEP_1) | instskip(NEXT) | instid1(VALU_DEP_1)
	v_dual_add_f32 v20, 1.0, v12 :: v_dual_cndmask_b32 v18, v19, v18, vcc_lo
	v_cmp_nge_f32_e32 vcc_lo, 1.0, v18
	s_delay_alu instid0(VALU_DEP_2)
	v_cndmask_b32_e32 v12, v20, v12, vcc_lo
	s_cbranch_scc1 .LBB27_298
; %bb.299:
	s_delay_alu instid0(VALU_DEP_1) | instskip(NEXT) | instid1(VALU_DEP_1)
	v_mul_f32_e32 v12, 4.0, v12
	v_div_scale_f32 v17, null, 0x461c4000, 0x461c4000, v12
	s_delay_alu instid0(VALU_DEP_1) | instskip(SKIP_1) | instid1(TRANS32_DEP_1)
	v_rcp_f32_e32 v18, v17
	v_nop
	v_fma_f32 v19, -v17, v18, 1.0
	s_delay_alu instid0(VALU_DEP_1) | instskip(SKIP_1) | instid1(VALU_DEP_1)
	v_fmac_f32_e32 v18, v19, v18
	v_div_scale_f32 v19, vcc_lo, v12, 0x461c4000, v12
	v_mul_f32_e32 v20, v19, v18
	s_delay_alu instid0(VALU_DEP_1) | instskip(NEXT) | instid1(VALU_DEP_1)
	v_fma_f32 v21, -v17, v20, v19
	v_fmac_f32_e32 v20, v21, v18
	s_delay_alu instid0(VALU_DEP_1) | instskip(NEXT) | instid1(VALU_DEP_1)
	v_fma_f32 v17, -v17, v20, v19
	v_div_fmas_f32 v17, v17, v18, v20
	s_delay_alu instid0(VALU_DEP_1)
	v_div_fixup_f32 v12, v17, 0x461c4000, v12
.LBB27_300:
	s_or_b32 exec_lo, exec_lo, s15
	v_or_b32_e32 v17, 0xb00, v0
	s_delay_alu instid0(VALU_DEP_1)
	v_cmp_gt_u32_e64 s12, s21, v17
	s_and_saveexec_b32 s15, s12
	s_cbranch_execz .LBB27_304
; %bb.301:
	v_add_nc_u32_e32 v11, s19, v17
	s_movk_i32 s17, 0x2710
	s_brev_b32 s16, 12
	s_delay_alu instid0(VALU_DEP_1) | instskip(NEXT) | instid1(VALU_DEP_1)
	v_lshlrev_b32_e32 v17, 12, v11
	v_add3_u32 v11, v11, v17, 0x7ed55d16
	s_delay_alu instid0(VALU_DEP_1) | instskip(NEXT) | instid1(VALU_DEP_1)
	v_lshrrev_b32_e32 v17, 19, v11
	v_xor3_b32 v11, v11, v17, 0xc761c23c
	s_delay_alu instid0(VALU_DEP_1) | instskip(NEXT) | instid1(VALU_DEP_1)
	v_lshl_add_u32 v11, v11, 5, v11
	v_add_nc_u32_e32 v17, 0xe9f8cc1d, v11
	v_lshl_add_u32 v11, v11, 9, 0xaccf6200
	s_delay_alu instid0(VALU_DEP_1) | instskip(NEXT) | instid1(VALU_DEP_1)
	v_xor_b32_e32 v11, v17, v11
	v_lshlrev_b32_e32 v17, 3, v11
	s_delay_alu instid0(VALU_DEP_1) | instskip(NEXT) | instid1(VALU_DEP_1)
	v_add3_u32 v11, v11, v17, 0xfd7046c5
	v_lshrrev_b32_e32 v17, 16, v11
	s_delay_alu instid0(VALU_DEP_1) | instskip(NEXT) | instid1(VALU_DEP_1)
	v_xor3_b32 v11, v11, v17, 0xb55a4f09
	v_mul_hi_u32 v17, v11, 3
	s_delay_alu instid0(VALU_DEP_1) | instskip(NEXT) | instid1(VALU_DEP_1)
	v_sub_nc_u32_e32 v18, v11, v17
	v_lshrrev_b32_e32 v18, 1, v18
	s_delay_alu instid0(VALU_DEP_1) | instskip(NEXT) | instid1(VALU_DEP_1)
	v_add_nc_u32_e32 v17, v18, v17
	v_lshrrev_b32_e32 v17, 30, v17
	s_delay_alu instid0(VALU_DEP_1) | instskip(NEXT) | instid1(VALU_DEP_1)
	v_mul_lo_u32 v17, 0x7fffffff, v17
	v_sub_nc_u32_e32 v11, v11, v17
	s_delay_alu instid0(VALU_DEP_1)
	v_max_u32_e32 v17, 1, v11
	v_mov_b32_e32 v11, 0
.LBB27_302:                             ; =>This Inner Loop Header: Depth=1
	s_delay_alu instid0(VALU_DEP_2) | instskip(NEXT) | instid1(VALU_DEP_1)
	v_mul_hi_u32 v18, 0xbc8f1391, v17
	v_lshrrev_b32_e32 v18, 15, v18
	s_delay_alu instid0(VALU_DEP_1) | instskip(NEXT) | instid1(VALU_DEP_1)
	v_mul_u32_u24_e32 v19, 0xadc8, v18
	v_sub_nc_u32_e32 v17, v17, v19
	v_mul_u32_u24_e32 v18, 0xd47, v18
	s_delay_alu instid0(VALU_DEP_2) | instskip(NEXT) | instid1(VALU_DEP_2)
	v_mul_lo_u32 v17, 0xbc8f, v17
	v_xor_b32_e32 v19, 0x7fffffff, v18
	v_sub_nc_u32_e32 v20, 0, v18
	s_delay_alu instid0(VALU_DEP_3) | instskip(NEXT) | instid1(VALU_DEP_2)
	v_cmp_lt_u32_e32 vcc_lo, v17, v18
	v_cndmask_b32_e32 v18, v20, v19, vcc_lo
	s_delay_alu instid0(VALU_DEP_1) | instskip(NEXT) | instid1(VALU_DEP_1)
	v_add_nc_u32_e32 v17, v18, v17
	v_mul_hi_u32 v18, 0xbc8f1391, v17
	s_delay_alu instid0(VALU_DEP_1) | instskip(NEXT) | instid1(VALU_DEP_1)
	v_lshrrev_b32_e32 v18, 15, v18
	v_mul_u32_u24_e32 v19, 0xadc8, v18
	v_mul_u32_u24_e32 v18, 0xd47, v18
	s_delay_alu instid0(VALU_DEP_2) | instskip(NEXT) | instid1(VALU_DEP_2)
	v_sub_nc_u32_e32 v19, v17, v19
	v_xor_b32_e32 v20, 0x7fffffff, v18
	v_add_nc_u32_e32 v17, -1, v17
	s_delay_alu instid0(VALU_DEP_3) | instskip(SKIP_1) | instid1(VALU_DEP_2)
	v_mul_lo_u32 v19, 0xbc8f, v19
	v_sub_nc_u32_e32 v21, 0, v18
	v_cmp_lt_u32_e32 vcc_lo, v19, v18
	s_delay_alu instid0(VALU_DEP_2) | instskip(NEXT) | instid1(VALU_DEP_1)
	v_cndmask_b32_e32 v18, v21, v20, vcc_lo
	v_add_nc_u32_e32 v19, v18, v19
	s_delay_alu instid0(VALU_DEP_1) | instskip(NEXT) | instid1(VALU_DEP_1)
	v_mul_hi_u32 v18, 0xbc8f1391, v19
	v_lshrrev_b32_e32 v18, 15, v18
	s_delay_alu instid0(VALU_DEP_1) | instskip(SKIP_1) | instid1(VALU_DEP_2)
	v_mul_u32_u24_e32 v20, 0xadc8, v18
	v_mul_u32_u24_e32 v18, 0xd47, v18
	v_sub_nc_u32_e32 v20, v19, v20
	s_delay_alu instid0(VALU_DEP_2) | instskip(NEXT) | instid1(VALU_DEP_2)
	v_xor_b32_e32 v21, 0x7fffffff, v18
	v_mul_lo_u32 v20, 0xbc8f, v20
	v_sub_nc_u32_e32 v22, 0, v18
	s_delay_alu instid0(VALU_DEP_2) | instskip(NEXT) | instid1(VALU_DEP_2)
	v_cmp_lt_u32_e32 vcc_lo, v20, v18
	v_dual_cndmask_b32 v18, v22, v21, vcc_lo :: v_dual_add_f32 v22, 1.0, v11
	s_delay_alu instid0(VALU_DEP_1) | instskip(NEXT) | instid1(VALU_DEP_1)
	v_add_nc_u32_e32 v20, v18, v20
	v_mul_hi_u32 v18, 0xbc8f1391, v20
	s_delay_alu instid0(VALU_DEP_1) | instskip(NEXT) | instid1(VALU_DEP_1)
	v_lshrrev_b32_e32 v18, 15, v18
	v_mul_u32_u24_e32 v21, 0xadc8, v18
	v_mul_u32_u24_e32 v23, 0xd47, v18
	v_cvt_f32_u32_e32 v18, v17
	s_delay_alu instid0(VALU_DEP_3) | instskip(NEXT) | instid1(VALU_DEP_3)
	v_sub_nc_u32_e32 v21, v20, v21
	v_xor_b32_e32 v17, 0x7fffffff, v23
	v_dual_sub_nc_u32 v24, 0, v23 :: v_dual_add_nc_u32 v20, -1, v20
	s_delay_alu instid0(VALU_DEP_3) | instskip(NEXT) | instid1(VALU_DEP_2)
	v_mul_lo_u32 v21, 0xbc8f, v21
	v_cvt_f32_u32_e32 v20, v20
	s_delay_alu instid0(VALU_DEP_2) | instskip(NEXT) | instid1(VALU_DEP_4)
	v_cmp_lt_u32_e32 vcc_lo, v21, v23
	v_dual_add_nc_u32 v19, -1, v19 :: v_dual_cndmask_b32 v17, v24, v17, vcc_lo
	s_delay_alu instid0(VALU_DEP_1) | instskip(NEXT) | instid1(VALU_DEP_2)
	v_cvt_f32_u32_e32 v19, v19
	v_add_nc_u32_e32 v17, v17, v21
	s_delay_alu instid0(VALU_DEP_2) | instskip(NEXT) | instid1(VALU_DEP_1)
	v_pk_fma_f32 v[18:19], v[18:19], s[16:17], 0 op_sel_hi:[1,0,0]
	v_pk_mul_f32 v[18:19], v[18:19], v[18:19]
	s_delay_alu instid0(VALU_DEP_1) | instskip(NEXT) | instid1(VALU_DEP_1)
	v_dual_add_nc_u32 v21, -1, v17 :: v_dual_add_f32 v23, v18, v19
	v_cvt_f32_u32_e32 v21, v21
	s_delay_alu instid0(VALU_DEP_2) | instskip(NEXT) | instid1(VALU_DEP_2)
	v_cmp_gt_f32_e32 vcc_lo, 0xf800000, v23
	v_pk_fma_f32 v[18:19], v[20:21], s[16:17], 0 op_sel_hi:[1,0,0]
	s_add_co_i32 s17, s17, -2
	s_delay_alu instid0(SALU_CYCLE_1) | instskip(NEXT) | instid1(VALU_DEP_1)
	s_cmp_lg_u32 s17, 0
	v_pk_mul_f32 v[18:19], v[18:19], v[18:19]
	s_delay_alu instid0(VALU_DEP_1) | instskip(NEXT) | instid1(VALU_DEP_1)
	v_add_f32_e32 v18, v18, v19
	v_dual_mul_f32 v20, 0x4f800000, v23 :: v_dual_mul_f32 v21, 0x4f800000, v18
	s_delay_alu instid0(VALU_DEP_1) | instskip(SKIP_1) | instid1(VALU_DEP_2)
	v_cndmask_b32_e32 v20, v23, v20, vcc_lo
	v_cmp_gt_f32_e64 s13, 0xf800000, v18
	v_sqrt_f32_e32 v19, v20
	v_nop
	s_delay_alu instid0(TRANS32_DEP_1) | instskip(NEXT) | instid1(VALU_DEP_1)
	v_dual_add_nc_u32 v23, -1, v19 :: v_dual_cndmask_b32 v18, v18, v21, s13
	v_dual_add_nc_u32 v21, 1, v19 :: v_dual_fma_f32 v24, -v23, v19, v20
	s_delay_alu instid0(VALU_DEP_2) | instskip(NEXT) | instid1(VALU_DEP_1)
	v_sqrt_f32_e32 v25, v18
	v_fma_f32 v26, -v21, v19, v20
	s_delay_alu instid0(VALU_DEP_2)
	v_cmp_ge_f32_e64 s14, 0, v24
	s_delay_alu instid0(TRANS32_DEP_1) | instid1(VALU_DEP_1)
	v_dual_cndmask_b32 v19, v19, v23, s14 :: v_dual_add_nc_u32 v23, -1, v25
	s_delay_alu instid0(VALU_DEP_3) | instskip(NEXT) | instid1(VALU_DEP_1)
	v_cmp_lt_f32_e64 s14, 0, v26
	v_cndmask_b32_e64 v19, v19, v21, s14
	s_delay_alu instid0(VALU_DEP_3) | instskip(NEXT) | instid1(VALU_DEP_1)
	v_dual_add_nc_u32 v21, 1, v25 :: v_dual_fma_f32 v24, -v23, v25, v18
	v_fma_f32 v27, -v21, v25, v18
	s_delay_alu instid0(VALU_DEP_2) | instskip(NEXT) | instid1(VALU_DEP_1)
	v_cmp_ge_f32_e64 s14, 0, v24
	v_cndmask_b32_e64 v23, v25, v23, s14
	v_mul_f32_e32 v26, 0x37800000, v19
	s_delay_alu instid0(VALU_DEP_4) | instskip(NEXT) | instid1(VALU_DEP_1)
	v_cmp_lt_f32_e64 s14, 0, v27
	v_cndmask_b32_e64 v21, v23, v21, s14
	s_delay_alu instid0(VALU_DEP_3) | instskip(SKIP_1) | instid1(VALU_DEP_2)
	v_cndmask_b32_e32 v19, v19, v26, vcc_lo
	v_cmp_class_f32_e64 vcc_lo, v20, 0x260
	v_cndmask_b32_e32 v19, v19, v20, vcc_lo
	s_delay_alu instid0(VALU_DEP_1) | instskip(SKIP_2) | instid1(VALU_DEP_2)
	v_cmp_nge_f32_e32 vcc_lo, 1.0, v19
	v_dual_cndmask_b32 v11, v22, v11 :: v_dual_mul_f32 v20, 0x37800000, v21
	v_cmp_class_f32_e64 vcc_lo, v18, 0x260
	v_dual_cndmask_b32 v19, v21, v20, s13 :: v_dual_add_f32 v20, 1.0, v11
	s_delay_alu instid0(VALU_DEP_1) | instskip(NEXT) | instid1(VALU_DEP_1)
	v_cndmask_b32_e32 v18, v19, v18, vcc_lo
	v_cmp_nge_f32_e32 vcc_lo, 1.0, v18
	s_delay_alu instid0(VALU_DEP_3)
	v_cndmask_b32_e32 v11, v20, v11, vcc_lo
	s_cbranch_scc1 .LBB27_302
; %bb.303:
	s_delay_alu instid0(VALU_DEP_1) | instskip(NEXT) | instid1(VALU_DEP_1)
	v_mul_f32_e32 v11, 4.0, v11
	v_div_scale_f32 v17, null, 0x461c4000, 0x461c4000, v11
	s_delay_alu instid0(VALU_DEP_1) | instskip(SKIP_1) | instid1(TRANS32_DEP_1)
	v_rcp_f32_e32 v18, v17
	v_nop
	v_fma_f32 v19, -v17, v18, 1.0
	s_delay_alu instid0(VALU_DEP_1) | instskip(SKIP_1) | instid1(VALU_DEP_1)
	v_fmac_f32_e32 v18, v19, v18
	v_div_scale_f32 v19, vcc_lo, v11, 0x461c4000, v11
	v_mul_f32_e32 v20, v19, v18
	s_delay_alu instid0(VALU_DEP_1) | instskip(NEXT) | instid1(VALU_DEP_1)
	v_fma_f32 v21, -v17, v20, v19
	v_fmac_f32_e32 v20, v21, v18
	s_delay_alu instid0(VALU_DEP_1) | instskip(NEXT) | instid1(VALU_DEP_1)
	v_fma_f32 v17, -v17, v20, v19
	v_div_fmas_f32 v17, v17, v18, v20
	s_delay_alu instid0(VALU_DEP_1)
	v_div_fixup_f32 v11, v17, 0x461c4000, v11
.LBB27_304:
	s_or_b32 exec_lo, exec_lo, s15
	v_or_b32_e32 v17, 0xc00, v0
	s_delay_alu instid0(VALU_DEP_1)
	v_cmp_gt_u32_e64 s13, s21, v17
	s_and_saveexec_b32 s17, s13
	s_cbranch_execz .LBB27_308
; %bb.305:
	v_add_nc_u32_e32 v14, s19, v17
	s_movk_i32 s18, 0x2710
	s_brev_b32 s16, 12
	s_delay_alu instid0(VALU_DEP_1) | instskip(NEXT) | instid1(VALU_DEP_1)
	v_lshlrev_b32_e32 v17, 12, v14
	v_add3_u32 v14, v14, v17, 0x7ed55d16
	s_delay_alu instid0(VALU_DEP_1) | instskip(NEXT) | instid1(VALU_DEP_1)
	v_lshrrev_b32_e32 v17, 19, v14
	v_xor3_b32 v14, v14, v17, 0xc761c23c
	s_delay_alu instid0(VALU_DEP_1) | instskip(NEXT) | instid1(VALU_DEP_1)
	v_lshl_add_u32 v14, v14, 5, v14
	v_add_nc_u32_e32 v17, 0xe9f8cc1d, v14
	v_lshl_add_u32 v14, v14, 9, 0xaccf6200
	s_delay_alu instid0(VALU_DEP_1) | instskip(NEXT) | instid1(VALU_DEP_1)
	v_xor_b32_e32 v14, v17, v14
	v_lshlrev_b32_e32 v17, 3, v14
	s_delay_alu instid0(VALU_DEP_1) | instskip(NEXT) | instid1(VALU_DEP_1)
	v_add3_u32 v14, v14, v17, 0xfd7046c5
	v_lshrrev_b32_e32 v17, 16, v14
	s_delay_alu instid0(VALU_DEP_1) | instskip(NEXT) | instid1(VALU_DEP_1)
	v_xor3_b32 v14, v14, v17, 0xb55a4f09
	v_mul_hi_u32 v17, v14, 3
	s_delay_alu instid0(VALU_DEP_1) | instskip(NEXT) | instid1(VALU_DEP_1)
	v_sub_nc_u32_e32 v18, v14, v17
	v_lshrrev_b32_e32 v18, 1, v18
	s_delay_alu instid0(VALU_DEP_1) | instskip(NEXT) | instid1(VALU_DEP_1)
	v_add_nc_u32_e32 v17, v18, v17
	v_lshrrev_b32_e32 v17, 30, v17
	s_delay_alu instid0(VALU_DEP_1) | instskip(NEXT) | instid1(VALU_DEP_1)
	v_mul_lo_u32 v17, 0x7fffffff, v17
	v_sub_nc_u32_e32 v14, v14, v17
	s_delay_alu instid0(VALU_DEP_1)
	v_max_u32_e32 v17, 1, v14
	v_mov_b32_e32 v14, 0
.LBB27_306:                             ; =>This Inner Loop Header: Depth=1
	s_delay_alu instid0(VALU_DEP_2) | instskip(SKIP_1) | instid1(SALU_CYCLE_1)
	v_mul_hi_u32 v18, 0xbc8f1391, v17
	s_add_co_i32 s18, s18, -2
	s_cmp_lg_u32 s18, 0
	s_delay_alu instid0(VALU_DEP_1) | instskip(NEXT) | instid1(VALU_DEP_1)
	v_lshrrev_b32_e32 v18, 15, v18
	v_mul_u32_u24_e32 v19, 0xadc8, v18
	s_delay_alu instid0(VALU_DEP_1) | instskip(SKIP_1) | instid1(VALU_DEP_2)
	v_sub_nc_u32_e32 v17, v17, v19
	v_mul_u32_u24_e32 v18, 0xd47, v18
	v_mul_lo_u32 v17, 0xbc8f, v17
	s_delay_alu instid0(VALU_DEP_2) | instskip(SKIP_1) | instid1(VALU_DEP_3)
	v_xor_b32_e32 v19, 0x7fffffff, v18
	v_sub_nc_u32_e32 v20, 0, v18
	v_cmp_lt_u32_e32 vcc_lo, v17, v18
	s_delay_alu instid0(VALU_DEP_2) | instskip(NEXT) | instid1(VALU_DEP_1)
	v_cndmask_b32_e32 v18, v20, v19, vcc_lo
	v_add_nc_u32_e32 v17, v18, v17
	s_delay_alu instid0(VALU_DEP_1) | instskip(NEXT) | instid1(VALU_DEP_1)
	v_mul_hi_u32 v18, 0xbc8f1391, v17
	v_lshrrev_b32_e32 v18, 15, v18
	s_delay_alu instid0(VALU_DEP_1) | instskip(SKIP_1) | instid1(VALU_DEP_2)
	v_mul_u32_u24_e32 v19, 0xadc8, v18
	v_mul_u32_u24_e32 v18, 0xd47, v18
	v_sub_nc_u32_e32 v19, v17, v19
	s_delay_alu instid0(VALU_DEP_2) | instskip(SKIP_1) | instid1(VALU_DEP_3)
	v_xor_b32_e32 v20, 0x7fffffff, v18
	v_add_nc_u32_e32 v17, -1, v17
	v_mul_lo_u32 v19, 0xbc8f, v19
	v_sub_nc_u32_e32 v21, 0, v18
	s_delay_alu instid0(VALU_DEP_2) | instskip(NEXT) | instid1(VALU_DEP_2)
	v_cmp_lt_u32_e32 vcc_lo, v19, v18
	v_cndmask_b32_e32 v18, v21, v20, vcc_lo
	s_delay_alu instid0(VALU_DEP_1) | instskip(NEXT) | instid1(VALU_DEP_1)
	v_add_nc_u32_e32 v19, v18, v19
	v_mul_hi_u32 v18, 0xbc8f1391, v19
	s_delay_alu instid0(VALU_DEP_1) | instskip(NEXT) | instid1(VALU_DEP_1)
	v_lshrrev_b32_e32 v18, 15, v18
	v_mul_u32_u24_e32 v20, 0xadc8, v18
	v_mul_u32_u24_e32 v18, 0xd47, v18
	s_delay_alu instid0(VALU_DEP_2) | instskip(NEXT) | instid1(VALU_DEP_2)
	v_sub_nc_u32_e32 v20, v19, v20
	v_xor_b32_e32 v21, 0x7fffffff, v18
	s_delay_alu instid0(VALU_DEP_2) | instskip(SKIP_1) | instid1(VALU_DEP_2)
	v_mul_lo_u32 v20, 0xbc8f, v20
	v_sub_nc_u32_e32 v22, 0, v18
	v_cmp_lt_u32_e32 vcc_lo, v20, v18
	s_delay_alu instid0(VALU_DEP_2) | instskip(NEXT) | instid1(VALU_DEP_1)
	v_dual_cndmask_b32 v18, v22, v21, vcc_lo :: v_dual_add_f32 v22, 1.0, v14
	v_add_nc_u32_e32 v20, v18, v20
	s_delay_alu instid0(VALU_DEP_1) | instskip(NEXT) | instid1(VALU_DEP_1)
	v_mul_hi_u32 v18, 0xbc8f1391, v20
	v_lshrrev_b32_e32 v18, 15, v18
	s_delay_alu instid0(VALU_DEP_1) | instskip(SKIP_2) | instid1(VALU_DEP_3)
	v_mul_u32_u24_e32 v21, 0xadc8, v18
	v_mul_u32_u24_e32 v23, 0xd47, v18
	v_cvt_f32_u32_e32 v18, v17
	v_sub_nc_u32_e32 v21, v20, v21
	s_delay_alu instid0(VALU_DEP_3) | instskip(SKIP_1) | instid1(VALU_DEP_3)
	v_xor_b32_e32 v17, 0x7fffffff, v23
	v_dual_sub_nc_u32 v24, 0, v23 :: v_dual_add_nc_u32 v20, -1, v20
	v_mul_lo_u32 v21, 0xbc8f, v21
	s_delay_alu instid0(VALU_DEP_2) | instskip(NEXT) | instid1(VALU_DEP_2)
	v_cvt_f32_u32_e32 v20, v20
	v_cmp_lt_u32_e32 vcc_lo, v21, v23
	s_delay_alu instid0(VALU_DEP_4) | instskip(NEXT) | instid1(VALU_DEP_1)
	v_dual_add_nc_u32 v19, -1, v19 :: v_dual_cndmask_b32 v17, v24, v17, vcc_lo
	v_cvt_f32_u32_e32 v19, v19
	s_delay_alu instid0(VALU_DEP_2) | instskip(NEXT) | instid1(VALU_DEP_2)
	v_add_nc_u32_e32 v17, v17, v21
	v_pk_fma_f32 v[18:19], v[18:19], s[16:17], 0 op_sel_hi:[1,0,0]
	s_delay_alu instid0(VALU_DEP_1) | instskip(NEXT) | instid1(VALU_DEP_1)
	v_pk_mul_f32 v[18:19], v[18:19], v[18:19]
	v_dual_add_nc_u32 v21, -1, v17 :: v_dual_add_f32 v23, v18, v19
	s_delay_alu instid0(VALU_DEP_1) | instskip(NEXT) | instid1(VALU_DEP_2)
	v_cvt_f32_u32_e32 v21, v21
	v_cmp_gt_f32_e32 vcc_lo, 0xf800000, v23
	s_delay_alu instid0(VALU_DEP_2) | instskip(NEXT) | instid1(VALU_DEP_1)
	v_pk_fma_f32 v[18:19], v[20:21], s[16:17], 0 op_sel_hi:[1,0,0]
	v_pk_mul_f32 v[18:19], v[18:19], v[18:19]
	s_delay_alu instid0(VALU_DEP_1) | instskip(NEXT) | instid1(VALU_DEP_1)
	v_add_f32_e32 v18, v18, v19
	v_dual_mul_f32 v20, 0x4f800000, v23 :: v_dual_mul_f32 v21, 0x4f800000, v18
	s_delay_alu instid0(VALU_DEP_1) | instskip(SKIP_1) | instid1(VALU_DEP_2)
	v_cndmask_b32_e32 v20, v23, v20, vcc_lo
	v_cmp_gt_f32_e64 s14, 0xf800000, v18
	v_sqrt_f32_e32 v19, v20
	v_nop
	s_delay_alu instid0(TRANS32_DEP_1) | instskip(NEXT) | instid1(VALU_DEP_1)
	v_dual_add_nc_u32 v23, -1, v19 :: v_dual_cndmask_b32 v18, v18, v21, s14
	v_dual_add_nc_u32 v21, 1, v19 :: v_dual_fma_f32 v24, -v23, v19, v20
	s_delay_alu instid0(VALU_DEP_2) | instskip(NEXT) | instid1(VALU_DEP_1)
	v_sqrt_f32_e32 v25, v18
	v_fma_f32 v26, -v21, v19, v20
	s_delay_alu instid0(VALU_DEP_2)
	v_cmp_ge_f32_e64 s15, 0, v24
	s_delay_alu instid0(TRANS32_DEP_1) | instid1(VALU_DEP_1)
	v_dual_cndmask_b32 v19, v19, v23, s15 :: v_dual_add_nc_u32 v23, -1, v25
	s_delay_alu instid0(VALU_DEP_3) | instskip(NEXT) | instid1(VALU_DEP_1)
	v_cmp_lt_f32_e64 s15, 0, v26
	v_cndmask_b32_e64 v19, v19, v21, s15
	s_delay_alu instid0(VALU_DEP_3) | instskip(NEXT) | instid1(VALU_DEP_1)
	v_dual_add_nc_u32 v21, 1, v25 :: v_dual_fma_f32 v24, -v23, v25, v18
	v_fma_f32 v27, -v21, v25, v18
	s_delay_alu instid0(VALU_DEP_2) | instskip(NEXT) | instid1(VALU_DEP_1)
	v_cmp_ge_f32_e64 s15, 0, v24
	v_cndmask_b32_e64 v23, v25, v23, s15
	v_mul_f32_e32 v26, 0x37800000, v19
	s_delay_alu instid0(VALU_DEP_4) | instskip(NEXT) | instid1(VALU_DEP_1)
	v_cmp_lt_f32_e64 s15, 0, v27
	v_cndmask_b32_e64 v21, v23, v21, s15
	s_delay_alu instid0(VALU_DEP_3) | instskip(SKIP_1) | instid1(VALU_DEP_2)
	v_cndmask_b32_e32 v19, v19, v26, vcc_lo
	v_cmp_class_f32_e64 vcc_lo, v20, 0x260
	v_cndmask_b32_e32 v19, v19, v20, vcc_lo
	s_delay_alu instid0(VALU_DEP_1) | instskip(SKIP_3) | instid1(VALU_DEP_2)
	v_cmp_nge_f32_e32 vcc_lo, 1.0, v19
	v_cndmask_b32_e32 v14, v22, v14, vcc_lo
	v_mul_f32_e32 v20, 0x37800000, v21
	v_cmp_class_f32_e64 vcc_lo, v18, 0x260
	v_dual_cndmask_b32 v19, v21, v20, s14 :: v_dual_add_f32 v20, 1.0, v14
	s_delay_alu instid0(VALU_DEP_1) | instskip(NEXT) | instid1(VALU_DEP_1)
	v_cndmask_b32_e32 v18, v19, v18, vcc_lo
	v_cmp_nge_f32_e32 vcc_lo, 1.0, v18
	s_delay_alu instid0(VALU_DEP_3)
	v_cndmask_b32_e32 v14, v20, v14, vcc_lo
	s_cbranch_scc1 .LBB27_306
; %bb.307:
	s_delay_alu instid0(VALU_DEP_1) | instskip(NEXT) | instid1(VALU_DEP_1)
	v_mul_f32_e32 v14, 4.0, v14
	v_div_scale_f32 v17, null, 0x461c4000, 0x461c4000, v14
	s_delay_alu instid0(VALU_DEP_1) | instskip(SKIP_1) | instid1(TRANS32_DEP_1)
	v_rcp_f32_e32 v18, v17
	v_nop
	v_fma_f32 v19, -v17, v18, 1.0
	s_delay_alu instid0(VALU_DEP_1) | instskip(SKIP_1) | instid1(VALU_DEP_1)
	v_fmac_f32_e32 v18, v19, v18
	v_div_scale_f32 v19, vcc_lo, v14, 0x461c4000, v14
	v_mul_f32_e32 v20, v19, v18
	s_delay_alu instid0(VALU_DEP_1) | instskip(NEXT) | instid1(VALU_DEP_1)
	v_fma_f32 v21, -v17, v20, v19
	v_fmac_f32_e32 v20, v21, v18
	s_delay_alu instid0(VALU_DEP_1) | instskip(NEXT) | instid1(VALU_DEP_1)
	v_fma_f32 v17, -v17, v20, v19
	v_div_fmas_f32 v17, v17, v18, v20
	s_delay_alu instid0(VALU_DEP_1)
	v_div_fixup_f32 v14, v17, 0x461c4000, v14
.LBB27_308:
	s_or_b32 exec_lo, exec_lo, s17
	v_or_b32_e32 v17, 0xd00, v0
	s_delay_alu instid0(VALU_DEP_1)
	v_cmp_gt_u32_e64 s14, s21, v17
	s_and_saveexec_b32 s17, s14
	s_cbranch_execz .LBB27_312
; %bb.309:
	v_add_nc_u32_e32 v13, s19, v17
	s_movk_i32 s20, 0x2710
	s_brev_b32 s18, 12
	s_delay_alu instid0(VALU_DEP_1) | instskip(NEXT) | instid1(VALU_DEP_1)
	v_lshlrev_b32_e32 v17, 12, v13
	v_add3_u32 v13, v13, v17, 0x7ed55d16
	s_delay_alu instid0(VALU_DEP_1) | instskip(NEXT) | instid1(VALU_DEP_1)
	v_lshrrev_b32_e32 v17, 19, v13
	v_xor3_b32 v13, v13, v17, 0xc761c23c
	s_delay_alu instid0(VALU_DEP_1) | instskip(NEXT) | instid1(VALU_DEP_1)
	v_lshl_add_u32 v13, v13, 5, v13
	v_add_nc_u32_e32 v17, 0xe9f8cc1d, v13
	v_lshl_add_u32 v13, v13, 9, 0xaccf6200
	s_delay_alu instid0(VALU_DEP_1) | instskip(NEXT) | instid1(VALU_DEP_1)
	v_xor_b32_e32 v13, v17, v13
	v_lshlrev_b32_e32 v17, 3, v13
	s_delay_alu instid0(VALU_DEP_1) | instskip(NEXT) | instid1(VALU_DEP_1)
	v_add3_u32 v13, v13, v17, 0xfd7046c5
	v_lshrrev_b32_e32 v17, 16, v13
	s_delay_alu instid0(VALU_DEP_1) | instskip(NEXT) | instid1(VALU_DEP_1)
	v_xor3_b32 v13, v13, v17, 0xb55a4f09
	v_mul_hi_u32 v17, v13, 3
	s_delay_alu instid0(VALU_DEP_1) | instskip(NEXT) | instid1(VALU_DEP_1)
	v_sub_nc_u32_e32 v18, v13, v17
	v_lshrrev_b32_e32 v18, 1, v18
	s_delay_alu instid0(VALU_DEP_1) | instskip(NEXT) | instid1(VALU_DEP_1)
	v_add_nc_u32_e32 v17, v18, v17
	v_lshrrev_b32_e32 v17, 30, v17
	s_delay_alu instid0(VALU_DEP_1) | instskip(NEXT) | instid1(VALU_DEP_1)
	v_mul_lo_u32 v17, 0x7fffffff, v17
	v_sub_nc_u32_e32 v13, v13, v17
	s_delay_alu instid0(VALU_DEP_1)
	v_max_u32_e32 v17, 1, v13
	v_mov_b32_e32 v13, 0
.LBB27_310:                             ; =>This Inner Loop Header: Depth=1
	s_delay_alu instid0(VALU_DEP_2) | instskip(SKIP_1) | instid1(SALU_CYCLE_1)
	v_mul_hi_u32 v18, 0xbc8f1391, v17
	s_add_co_i32 s20, s20, -2
	s_cmp_lg_u32 s20, 0
	s_delay_alu instid0(VALU_DEP_1) | instskip(NEXT) | instid1(VALU_DEP_1)
	v_lshrrev_b32_e32 v18, 15, v18
	v_mul_u32_u24_e32 v19, 0xadc8, v18
	s_delay_alu instid0(VALU_DEP_1) | instskip(SKIP_1) | instid1(VALU_DEP_2)
	v_sub_nc_u32_e32 v17, v17, v19
	v_mul_u32_u24_e32 v18, 0xd47, v18
	v_mul_lo_u32 v17, 0xbc8f, v17
	s_delay_alu instid0(VALU_DEP_2) | instskip(SKIP_1) | instid1(VALU_DEP_3)
	v_xor_b32_e32 v19, 0x7fffffff, v18
	v_sub_nc_u32_e32 v20, 0, v18
	v_cmp_lt_u32_e32 vcc_lo, v17, v18
	s_delay_alu instid0(VALU_DEP_2) | instskip(NEXT) | instid1(VALU_DEP_1)
	v_cndmask_b32_e32 v18, v20, v19, vcc_lo
	v_add_nc_u32_e32 v17, v18, v17
	s_delay_alu instid0(VALU_DEP_1) | instskip(NEXT) | instid1(VALU_DEP_1)
	v_mul_hi_u32 v18, 0xbc8f1391, v17
	v_lshrrev_b32_e32 v18, 15, v18
	s_delay_alu instid0(VALU_DEP_1) | instskip(SKIP_1) | instid1(VALU_DEP_2)
	v_mul_u32_u24_e32 v19, 0xadc8, v18
	v_mul_u32_u24_e32 v18, 0xd47, v18
	v_sub_nc_u32_e32 v19, v17, v19
	s_delay_alu instid0(VALU_DEP_2) | instskip(SKIP_1) | instid1(VALU_DEP_3)
	v_xor_b32_e32 v20, 0x7fffffff, v18
	v_add_nc_u32_e32 v17, -1, v17
	v_mul_lo_u32 v19, 0xbc8f, v19
	v_sub_nc_u32_e32 v21, 0, v18
	s_delay_alu instid0(VALU_DEP_2) | instskip(NEXT) | instid1(VALU_DEP_2)
	v_cmp_lt_u32_e32 vcc_lo, v19, v18
	v_cndmask_b32_e32 v18, v21, v20, vcc_lo
	s_delay_alu instid0(VALU_DEP_1) | instskip(NEXT) | instid1(VALU_DEP_1)
	v_add_nc_u32_e32 v19, v18, v19
	v_mul_hi_u32 v18, 0xbc8f1391, v19
	s_delay_alu instid0(VALU_DEP_1) | instskip(NEXT) | instid1(VALU_DEP_1)
	v_lshrrev_b32_e32 v18, 15, v18
	v_mul_u32_u24_e32 v20, 0xadc8, v18
	v_mul_u32_u24_e32 v18, 0xd47, v18
	s_delay_alu instid0(VALU_DEP_2) | instskip(NEXT) | instid1(VALU_DEP_2)
	v_sub_nc_u32_e32 v20, v19, v20
	v_xor_b32_e32 v21, 0x7fffffff, v18
	s_delay_alu instid0(VALU_DEP_2) | instskip(SKIP_1) | instid1(VALU_DEP_2)
	v_mul_lo_u32 v20, 0xbc8f, v20
	v_sub_nc_u32_e32 v22, 0, v18
	v_cmp_lt_u32_e32 vcc_lo, v20, v18
	s_delay_alu instid0(VALU_DEP_2) | instskip(NEXT) | instid1(VALU_DEP_1)
	v_cndmask_b32_e32 v18, v22, v21, vcc_lo
	v_dual_add_f32 v22, 1.0, v13 :: v_dual_add_nc_u32 v20, v18, v20
	s_delay_alu instid0(VALU_DEP_1) | instskip(NEXT) | instid1(VALU_DEP_1)
	v_mul_hi_u32 v18, 0xbc8f1391, v20
	v_lshrrev_b32_e32 v18, 15, v18
	s_delay_alu instid0(VALU_DEP_1) | instskip(SKIP_2) | instid1(VALU_DEP_3)
	v_mul_u32_u24_e32 v21, 0xadc8, v18
	v_mul_u32_u24_e32 v23, 0xd47, v18
	v_cvt_f32_u32_e32 v18, v17
	v_sub_nc_u32_e32 v21, v20, v21
	s_delay_alu instid0(VALU_DEP_3) | instskip(SKIP_1) | instid1(VALU_DEP_3)
	v_xor_b32_e32 v17, 0x7fffffff, v23
	v_dual_sub_nc_u32 v24, 0, v23 :: v_dual_add_nc_u32 v20, -1, v20
	v_mul_lo_u32 v21, 0xbc8f, v21
	s_delay_alu instid0(VALU_DEP_2) | instskip(NEXT) | instid1(VALU_DEP_2)
	v_cvt_f32_u32_e32 v20, v20
	v_cmp_lt_u32_e32 vcc_lo, v21, v23
	s_delay_alu instid0(VALU_DEP_4) | instskip(NEXT) | instid1(VALU_DEP_1)
	v_dual_add_nc_u32 v19, -1, v19 :: v_dual_cndmask_b32 v17, v24, v17, vcc_lo
	v_cvt_f32_u32_e32 v19, v19
	s_delay_alu instid0(VALU_DEP_2) | instskip(NEXT) | instid1(VALU_DEP_2)
	v_add_nc_u32_e32 v17, v17, v21
	v_pk_fma_f32 v[18:19], v[18:19], s[18:19], 0 op_sel_hi:[1,0,0]
	s_delay_alu instid0(VALU_DEP_1) | instskip(NEXT) | instid1(VALU_DEP_1)
	v_pk_mul_f32 v[18:19], v[18:19], v[18:19]
	v_dual_add_nc_u32 v21, -1, v17 :: v_dual_add_f32 v23, v18, v19
	s_delay_alu instid0(VALU_DEP_1) | instskip(NEXT) | instid1(VALU_DEP_2)
	v_cvt_f32_u32_e32 v21, v21
	v_cmp_gt_f32_e32 vcc_lo, 0xf800000, v23
	s_delay_alu instid0(VALU_DEP_2) | instskip(NEXT) | instid1(VALU_DEP_1)
	v_pk_fma_f32 v[18:19], v[20:21], s[18:19], 0 op_sel_hi:[1,0,0]
	v_pk_mul_f32 v[18:19], v[18:19], v[18:19]
	s_delay_alu instid0(VALU_DEP_1) | instskip(NEXT) | instid1(VALU_DEP_1)
	v_add_f32_e32 v18, v18, v19
	v_dual_mul_f32 v20, 0x4f800000, v23 :: v_dual_mul_f32 v21, 0x4f800000, v18
	s_delay_alu instid0(VALU_DEP_1) | instskip(SKIP_1) | instid1(VALU_DEP_2)
	v_cndmask_b32_e32 v20, v23, v20, vcc_lo
	v_cmp_gt_f32_e64 s15, 0xf800000, v18
	v_sqrt_f32_e32 v19, v20
	v_nop
	s_delay_alu instid0(TRANS32_DEP_1) | instskip(NEXT) | instid1(VALU_DEP_1)
	v_dual_add_nc_u32 v23, -1, v19 :: v_dual_cndmask_b32 v18, v18, v21, s15
	v_dual_add_nc_u32 v21, 1, v19 :: v_dual_fma_f32 v24, -v23, v19, v20
	s_delay_alu instid0(VALU_DEP_2) | instskip(NEXT) | instid1(VALU_DEP_1)
	v_sqrt_f32_e32 v25, v18
	v_fma_f32 v26, -v21, v19, v20
	s_delay_alu instid0(VALU_DEP_2)
	v_cmp_ge_f32_e64 s16, 0, v24
	s_delay_alu instid0(TRANS32_DEP_1) | instid1(VALU_DEP_1)
	v_dual_cndmask_b32 v19, v19, v23, s16 :: v_dual_add_nc_u32 v23, -1, v25
	s_delay_alu instid0(VALU_DEP_3) | instskip(NEXT) | instid1(VALU_DEP_1)
	v_cmp_lt_f32_e64 s16, 0, v26
	v_cndmask_b32_e64 v19, v19, v21, s16
	s_delay_alu instid0(VALU_DEP_3) | instskip(NEXT) | instid1(VALU_DEP_1)
	v_dual_add_nc_u32 v21, 1, v25 :: v_dual_fma_f32 v24, -v23, v25, v18
	v_fma_f32 v27, -v21, v25, v18
	s_delay_alu instid0(VALU_DEP_2) | instskip(NEXT) | instid1(VALU_DEP_1)
	v_cmp_ge_f32_e64 s16, 0, v24
	v_cndmask_b32_e64 v23, v25, v23, s16
	v_mul_f32_e32 v26, 0x37800000, v19
	s_delay_alu instid0(VALU_DEP_4) | instskip(NEXT) | instid1(VALU_DEP_1)
	v_cmp_lt_f32_e64 s16, 0, v27
	v_cndmask_b32_e64 v21, v23, v21, s16
	s_delay_alu instid0(VALU_DEP_3) | instskip(SKIP_1) | instid1(VALU_DEP_2)
	v_cndmask_b32_e32 v19, v19, v26, vcc_lo
	v_cmp_class_f32_e64 vcc_lo, v20, 0x260
	v_dual_cndmask_b32 v19, v19, v20 :: v_dual_mul_f32 v20, 0x37800000, v21
	s_delay_alu instid0(VALU_DEP_1) | instskip(NEXT) | instid1(VALU_DEP_2)
	v_cmp_nge_f32_e32 vcc_lo, 1.0, v19
	v_dual_cndmask_b32 v19, v21, v20, s15 :: v_dual_cndmask_b32 v13, v22, v13, vcc_lo
	v_cmp_class_f32_e64 vcc_lo, v18, 0x260
	s_delay_alu instid0(VALU_DEP_1) | instskip(NEXT) | instid1(VALU_DEP_1)
	v_dual_add_f32 v20, 1.0, v13 :: v_dual_cndmask_b32 v18, v19, v18, vcc_lo
	v_cmp_nge_f32_e32 vcc_lo, 1.0, v18
	s_delay_alu instid0(VALU_DEP_2)
	v_cndmask_b32_e32 v13, v20, v13, vcc_lo
	s_cbranch_scc1 .LBB27_310
; %bb.311:
	s_delay_alu instid0(VALU_DEP_1) | instskip(NEXT) | instid1(VALU_DEP_1)
	v_mul_f32_e32 v13, 4.0, v13
	v_div_scale_f32 v17, null, 0x461c4000, 0x461c4000, v13
	s_delay_alu instid0(VALU_DEP_1) | instskip(SKIP_1) | instid1(TRANS32_DEP_1)
	v_rcp_f32_e32 v18, v17
	v_nop
	v_fma_f32 v19, -v17, v18, 1.0
	s_delay_alu instid0(VALU_DEP_1) | instskip(SKIP_1) | instid1(VALU_DEP_1)
	v_fmac_f32_e32 v18, v19, v18
	v_div_scale_f32 v19, vcc_lo, v13, 0x461c4000, v13
	v_mul_f32_e32 v20, v19, v18
	s_delay_alu instid0(VALU_DEP_1) | instskip(NEXT) | instid1(VALU_DEP_1)
	v_fma_f32 v21, -v17, v20, v19
	v_fmac_f32_e32 v20, v21, v18
	s_delay_alu instid0(VALU_DEP_1) | instskip(NEXT) | instid1(VALU_DEP_1)
	v_fma_f32 v17, -v17, v20, v19
	v_div_fmas_f32 v17, v17, v18, v20
	s_delay_alu instid0(VALU_DEP_1)
	v_div_fixup_f32 v13, v17, 0x461c4000, v13
.LBB27_312:
	s_or_b32 exec_lo, exec_lo, s17
	v_or_b32_e32 v17, 0xe00, v0
	s_delay_alu instid0(VALU_DEP_1)
	v_cmp_gt_u32_e64 s15, s21, v17
	s_and_saveexec_b32 s20, s15
	s_cbranch_execz .LBB27_316
; %bb.313:
	v_add_nc_u32_e32 v16, s19, v17
	s_movk_i32 s22, 0x2710
	s_brev_b32 s18, 12
	s_delay_alu instid0(VALU_DEP_1) | instskip(NEXT) | instid1(VALU_DEP_1)
	v_lshlrev_b32_e32 v17, 12, v16
	v_add3_u32 v16, v16, v17, 0x7ed55d16
	s_delay_alu instid0(VALU_DEP_1) | instskip(NEXT) | instid1(VALU_DEP_1)
	v_lshrrev_b32_e32 v17, 19, v16
	v_xor3_b32 v16, v16, v17, 0xc761c23c
	s_delay_alu instid0(VALU_DEP_1) | instskip(NEXT) | instid1(VALU_DEP_1)
	v_lshl_add_u32 v16, v16, 5, v16
	v_add_nc_u32_e32 v17, 0xe9f8cc1d, v16
	v_lshl_add_u32 v16, v16, 9, 0xaccf6200
	s_delay_alu instid0(VALU_DEP_1) | instskip(NEXT) | instid1(VALU_DEP_1)
	v_xor_b32_e32 v16, v17, v16
	v_lshlrev_b32_e32 v17, 3, v16
	s_delay_alu instid0(VALU_DEP_1) | instskip(NEXT) | instid1(VALU_DEP_1)
	v_add3_u32 v16, v16, v17, 0xfd7046c5
	v_lshrrev_b32_e32 v17, 16, v16
	s_delay_alu instid0(VALU_DEP_1) | instskip(NEXT) | instid1(VALU_DEP_1)
	v_xor3_b32 v16, v16, v17, 0xb55a4f09
	v_mul_hi_u32 v17, v16, 3
	s_delay_alu instid0(VALU_DEP_1) | instskip(NEXT) | instid1(VALU_DEP_1)
	v_sub_nc_u32_e32 v18, v16, v17
	v_lshrrev_b32_e32 v18, 1, v18
	s_delay_alu instid0(VALU_DEP_1) | instskip(NEXT) | instid1(VALU_DEP_1)
	v_add_nc_u32_e32 v17, v18, v17
	v_lshrrev_b32_e32 v17, 30, v17
	s_delay_alu instid0(VALU_DEP_1) | instskip(NEXT) | instid1(VALU_DEP_1)
	v_mul_lo_u32 v17, 0x7fffffff, v17
	v_sub_nc_u32_e32 v16, v16, v17
	s_delay_alu instid0(VALU_DEP_1)
	v_max_u32_e32 v17, 1, v16
	v_mov_b32_e32 v16, 0
.LBB27_314:                             ; =>This Inner Loop Header: Depth=1
	s_delay_alu instid0(VALU_DEP_2) | instskip(SKIP_1) | instid1(SALU_CYCLE_1)
	v_mul_hi_u32 v18, 0xbc8f1391, v17
	s_add_co_i32 s22, s22, -2
	s_cmp_lg_u32 s22, 0
	s_delay_alu instid0(VALU_DEP_1) | instskip(NEXT) | instid1(VALU_DEP_1)
	v_lshrrev_b32_e32 v18, 15, v18
	v_mul_u32_u24_e32 v19, 0xadc8, v18
	s_delay_alu instid0(VALU_DEP_1) | instskip(SKIP_1) | instid1(VALU_DEP_2)
	v_sub_nc_u32_e32 v17, v17, v19
	v_mul_u32_u24_e32 v18, 0xd47, v18
	v_mul_lo_u32 v17, 0xbc8f, v17
	s_delay_alu instid0(VALU_DEP_2) | instskip(SKIP_1) | instid1(VALU_DEP_3)
	v_xor_b32_e32 v19, 0x7fffffff, v18
	v_sub_nc_u32_e32 v20, 0, v18
	v_cmp_lt_u32_e32 vcc_lo, v17, v18
	s_delay_alu instid0(VALU_DEP_2) | instskip(NEXT) | instid1(VALU_DEP_1)
	v_cndmask_b32_e32 v18, v20, v19, vcc_lo
	v_add_nc_u32_e32 v17, v18, v17
	s_delay_alu instid0(VALU_DEP_1) | instskip(NEXT) | instid1(VALU_DEP_1)
	v_mul_hi_u32 v18, 0xbc8f1391, v17
	v_lshrrev_b32_e32 v18, 15, v18
	s_delay_alu instid0(VALU_DEP_1) | instskip(SKIP_1) | instid1(VALU_DEP_2)
	v_mul_u32_u24_e32 v19, 0xadc8, v18
	v_mul_u32_u24_e32 v18, 0xd47, v18
	v_sub_nc_u32_e32 v19, v17, v19
	s_delay_alu instid0(VALU_DEP_2) | instskip(SKIP_1) | instid1(VALU_DEP_3)
	v_xor_b32_e32 v20, 0x7fffffff, v18
	v_add_nc_u32_e32 v17, -1, v17
	v_mul_lo_u32 v19, 0xbc8f, v19
	v_sub_nc_u32_e32 v21, 0, v18
	s_delay_alu instid0(VALU_DEP_2) | instskip(NEXT) | instid1(VALU_DEP_2)
	v_cmp_lt_u32_e32 vcc_lo, v19, v18
	v_cndmask_b32_e32 v18, v21, v20, vcc_lo
	s_delay_alu instid0(VALU_DEP_1) | instskip(NEXT) | instid1(VALU_DEP_1)
	v_add_nc_u32_e32 v19, v18, v19
	v_mul_hi_u32 v18, 0xbc8f1391, v19
	s_delay_alu instid0(VALU_DEP_1) | instskip(NEXT) | instid1(VALU_DEP_1)
	v_lshrrev_b32_e32 v18, 15, v18
	v_mul_u32_u24_e32 v20, 0xadc8, v18
	v_mul_u32_u24_e32 v18, 0xd47, v18
	s_delay_alu instid0(VALU_DEP_2) | instskip(NEXT) | instid1(VALU_DEP_2)
	v_sub_nc_u32_e32 v20, v19, v20
	v_xor_b32_e32 v21, 0x7fffffff, v18
	s_delay_alu instid0(VALU_DEP_2) | instskip(SKIP_1) | instid1(VALU_DEP_2)
	v_mul_lo_u32 v20, 0xbc8f, v20
	v_sub_nc_u32_e32 v22, 0, v18
	v_cmp_lt_u32_e32 vcc_lo, v20, v18
	s_delay_alu instid0(VALU_DEP_2) | instskip(NEXT) | instid1(VALU_DEP_1)
	v_dual_cndmask_b32 v18, v22, v21, vcc_lo :: v_dual_add_f32 v22, 1.0, v16
	v_add_nc_u32_e32 v20, v18, v20
	s_delay_alu instid0(VALU_DEP_1) | instskip(NEXT) | instid1(VALU_DEP_1)
	v_mul_hi_u32 v18, 0xbc8f1391, v20
	v_lshrrev_b32_e32 v18, 15, v18
	s_delay_alu instid0(VALU_DEP_1) | instskip(SKIP_2) | instid1(VALU_DEP_3)
	v_mul_u32_u24_e32 v21, 0xadc8, v18
	v_mul_u32_u24_e32 v23, 0xd47, v18
	v_cvt_f32_u32_e32 v18, v17
	v_sub_nc_u32_e32 v21, v20, v21
	s_delay_alu instid0(VALU_DEP_3) | instskip(SKIP_1) | instid1(VALU_DEP_3)
	v_xor_b32_e32 v17, 0x7fffffff, v23
	v_dual_sub_nc_u32 v24, 0, v23 :: v_dual_add_nc_u32 v20, -1, v20
	v_mul_lo_u32 v21, 0xbc8f, v21
	s_delay_alu instid0(VALU_DEP_2) | instskip(NEXT) | instid1(VALU_DEP_2)
	v_cvt_f32_u32_e32 v20, v20
	v_cmp_lt_u32_e32 vcc_lo, v21, v23
	s_delay_alu instid0(VALU_DEP_4) | instskip(NEXT) | instid1(VALU_DEP_1)
	v_dual_add_nc_u32 v19, -1, v19 :: v_dual_cndmask_b32 v17, v24, v17, vcc_lo
	v_cvt_f32_u32_e32 v19, v19
	s_delay_alu instid0(VALU_DEP_2) | instskip(NEXT) | instid1(VALU_DEP_2)
	v_add_nc_u32_e32 v17, v17, v21
	v_pk_fma_f32 v[18:19], v[18:19], s[18:19], 0 op_sel_hi:[1,0,0]
	s_delay_alu instid0(VALU_DEP_1) | instskip(NEXT) | instid1(VALU_DEP_1)
	v_pk_mul_f32 v[18:19], v[18:19], v[18:19]
	v_dual_add_nc_u32 v21, -1, v17 :: v_dual_add_f32 v23, v18, v19
	s_delay_alu instid0(VALU_DEP_1) | instskip(NEXT) | instid1(VALU_DEP_2)
	v_cvt_f32_u32_e32 v21, v21
	v_cmp_gt_f32_e32 vcc_lo, 0xf800000, v23
	s_delay_alu instid0(VALU_DEP_2) | instskip(NEXT) | instid1(VALU_DEP_1)
	v_pk_fma_f32 v[18:19], v[20:21], s[18:19], 0 op_sel_hi:[1,0,0]
	v_pk_mul_f32 v[18:19], v[18:19], v[18:19]
	s_delay_alu instid0(VALU_DEP_1) | instskip(NEXT) | instid1(VALU_DEP_1)
	v_add_f32_e32 v18, v18, v19
	v_dual_mul_f32 v20, 0x4f800000, v23 :: v_dual_mul_f32 v21, 0x4f800000, v18
	s_delay_alu instid0(VALU_DEP_1) | instskip(SKIP_1) | instid1(VALU_DEP_2)
	v_cndmask_b32_e32 v20, v23, v20, vcc_lo
	v_cmp_gt_f32_e64 s16, 0xf800000, v18
	v_sqrt_f32_e32 v19, v20
	v_nop
	s_delay_alu instid0(TRANS32_DEP_1) | instskip(NEXT) | instid1(VALU_DEP_1)
	v_dual_add_nc_u32 v23, -1, v19 :: v_dual_cndmask_b32 v18, v18, v21, s16
	v_dual_add_nc_u32 v21, 1, v19 :: v_dual_fma_f32 v24, -v23, v19, v20
	s_delay_alu instid0(VALU_DEP_2) | instskip(NEXT) | instid1(VALU_DEP_1)
	v_sqrt_f32_e32 v25, v18
	v_fma_f32 v26, -v21, v19, v20
	s_delay_alu instid0(VALU_DEP_2)
	v_cmp_ge_f32_e64 s17, 0, v24
	s_delay_alu instid0(TRANS32_DEP_1) | instid1(VALU_DEP_1)
	v_dual_cndmask_b32 v19, v19, v23, s17 :: v_dual_add_nc_u32 v23, -1, v25
	s_delay_alu instid0(VALU_DEP_3) | instskip(NEXT) | instid1(VALU_DEP_1)
	v_cmp_lt_f32_e64 s17, 0, v26
	v_cndmask_b32_e64 v19, v19, v21, s17
	s_delay_alu instid0(VALU_DEP_3) | instskip(NEXT) | instid1(VALU_DEP_1)
	v_dual_add_nc_u32 v21, 1, v25 :: v_dual_fma_f32 v24, -v23, v25, v18
	v_fma_f32 v27, -v21, v25, v18
	s_delay_alu instid0(VALU_DEP_2) | instskip(NEXT) | instid1(VALU_DEP_1)
	v_cmp_ge_f32_e64 s17, 0, v24
	v_cndmask_b32_e64 v23, v25, v23, s17
	v_mul_f32_e32 v26, 0x37800000, v19
	s_delay_alu instid0(VALU_DEP_4) | instskip(NEXT) | instid1(VALU_DEP_1)
	v_cmp_lt_f32_e64 s17, 0, v27
	v_cndmask_b32_e64 v21, v23, v21, s17
	s_delay_alu instid0(VALU_DEP_3) | instskip(SKIP_1) | instid1(VALU_DEP_2)
	v_cndmask_b32_e32 v19, v19, v26, vcc_lo
	v_cmp_class_f32_e64 vcc_lo, v20, 0x260
	v_cndmask_b32_e32 v19, v19, v20, vcc_lo
	s_delay_alu instid0(VALU_DEP_1) | instskip(SKIP_3) | instid1(VALU_DEP_2)
	v_cmp_nge_f32_e32 vcc_lo, 1.0, v19
	v_cndmask_b32_e32 v16, v22, v16, vcc_lo
	v_mul_f32_e32 v20, 0x37800000, v21
	v_cmp_class_f32_e64 vcc_lo, v18, 0x260
	v_cndmask_b32_e64 v19, v21, v20, s16
	s_delay_alu instid0(VALU_DEP_1) | instskip(NEXT) | instid1(VALU_DEP_1)
	v_dual_add_f32 v20, 1.0, v16 :: v_dual_cndmask_b32 v18, v19, v18, vcc_lo
	v_cmp_nge_f32_e32 vcc_lo, 1.0, v18
	s_delay_alu instid0(VALU_DEP_2)
	v_cndmask_b32_e32 v16, v20, v16, vcc_lo
	s_cbranch_scc1 .LBB27_314
; %bb.315:
	s_delay_alu instid0(VALU_DEP_1) | instskip(NEXT) | instid1(VALU_DEP_1)
	v_mul_f32_e32 v16, 4.0, v16
	v_div_scale_f32 v17, null, 0x461c4000, 0x461c4000, v16
	s_delay_alu instid0(VALU_DEP_1) | instskip(SKIP_1) | instid1(TRANS32_DEP_1)
	v_rcp_f32_e32 v18, v17
	v_nop
	v_fma_f32 v19, -v17, v18, 1.0
	s_delay_alu instid0(VALU_DEP_1) | instskip(SKIP_1) | instid1(VALU_DEP_1)
	v_fmac_f32_e32 v18, v19, v18
	v_div_scale_f32 v19, vcc_lo, v16, 0x461c4000, v16
	v_mul_f32_e32 v20, v19, v18
	s_delay_alu instid0(VALU_DEP_1) | instskip(NEXT) | instid1(VALU_DEP_1)
	v_fma_f32 v21, -v17, v20, v19
	v_fmac_f32_e32 v20, v21, v18
	s_delay_alu instid0(VALU_DEP_1) | instskip(NEXT) | instid1(VALU_DEP_1)
	v_fma_f32 v17, -v17, v20, v19
	v_div_fmas_f32 v17, v17, v18, v20
	s_delay_alu instid0(VALU_DEP_1)
	v_div_fixup_f32 v16, v17, 0x461c4000, v16
.LBB27_316:
	s_or_b32 exec_lo, exec_lo, s20
	v_or_b32_e32 v17, 0xf00, v0
	s_delay_alu instid0(VALU_DEP_1)
	v_cmp_gt_u32_e64 s16, s21, v17
	s_and_saveexec_b32 s22, s16
	s_cbranch_execz .LBB27_320
; %bb.317:
	v_add_nc_u32_e32 v15, s19, v17
	s_movk_i32 s19, 0x2710
	s_brev_b32 s20, 12
	s_delay_alu instid0(VALU_DEP_1) | instskip(NEXT) | instid1(VALU_DEP_1)
	v_lshlrev_b32_e32 v17, 12, v15
	v_add3_u32 v15, v15, v17, 0x7ed55d16
	s_delay_alu instid0(VALU_DEP_1) | instskip(NEXT) | instid1(VALU_DEP_1)
	v_lshrrev_b32_e32 v17, 19, v15
	v_xor3_b32 v15, v15, v17, 0xc761c23c
	s_delay_alu instid0(VALU_DEP_1) | instskip(NEXT) | instid1(VALU_DEP_1)
	v_lshl_add_u32 v15, v15, 5, v15
	v_add_nc_u32_e32 v17, 0xe9f8cc1d, v15
	v_lshl_add_u32 v15, v15, 9, 0xaccf6200
	s_delay_alu instid0(VALU_DEP_1) | instskip(NEXT) | instid1(VALU_DEP_1)
	v_xor_b32_e32 v15, v17, v15
	v_lshlrev_b32_e32 v17, 3, v15
	s_delay_alu instid0(VALU_DEP_1) | instskip(NEXT) | instid1(VALU_DEP_1)
	v_add3_u32 v15, v15, v17, 0xfd7046c5
	v_lshrrev_b32_e32 v17, 16, v15
	s_delay_alu instid0(VALU_DEP_1) | instskip(NEXT) | instid1(VALU_DEP_1)
	v_xor3_b32 v15, v15, v17, 0xb55a4f09
	v_mul_hi_u32 v17, v15, 3
	s_delay_alu instid0(VALU_DEP_1) | instskip(NEXT) | instid1(VALU_DEP_1)
	v_sub_nc_u32_e32 v18, v15, v17
	v_lshrrev_b32_e32 v18, 1, v18
	s_delay_alu instid0(VALU_DEP_1) | instskip(NEXT) | instid1(VALU_DEP_1)
	v_add_nc_u32_e32 v17, v18, v17
	v_lshrrev_b32_e32 v17, 30, v17
	s_delay_alu instid0(VALU_DEP_1) | instskip(NEXT) | instid1(VALU_DEP_1)
	v_mul_lo_u32 v17, 0x7fffffff, v17
	v_sub_nc_u32_e32 v15, v15, v17
	s_delay_alu instid0(VALU_DEP_1)
	v_max_u32_e32 v17, 1, v15
	v_mov_b32_e32 v15, 0
.LBB27_318:                             ; =>This Inner Loop Header: Depth=1
	s_delay_alu instid0(VALU_DEP_2) | instskip(SKIP_1) | instid1(SALU_CYCLE_1)
	v_mul_hi_u32 v18, 0xbc8f1391, v17
	s_add_co_i32 s19, s19, -2
	s_cmp_lg_u32 s19, 0
	s_delay_alu instid0(VALU_DEP_1) | instskip(NEXT) | instid1(VALU_DEP_1)
	v_lshrrev_b32_e32 v18, 15, v18
	v_mul_u32_u24_e32 v19, 0xadc8, v18
	s_delay_alu instid0(VALU_DEP_1) | instskip(SKIP_1) | instid1(VALU_DEP_2)
	v_sub_nc_u32_e32 v17, v17, v19
	v_mul_u32_u24_e32 v18, 0xd47, v18
	v_mul_lo_u32 v17, 0xbc8f, v17
	s_delay_alu instid0(VALU_DEP_2) | instskip(SKIP_1) | instid1(VALU_DEP_3)
	v_xor_b32_e32 v19, 0x7fffffff, v18
	v_sub_nc_u32_e32 v20, 0, v18
	v_cmp_lt_u32_e32 vcc_lo, v17, v18
	s_delay_alu instid0(VALU_DEP_2) | instskip(NEXT) | instid1(VALU_DEP_1)
	v_cndmask_b32_e32 v18, v20, v19, vcc_lo
	v_add_nc_u32_e32 v17, v18, v17
	s_delay_alu instid0(VALU_DEP_1) | instskip(NEXT) | instid1(VALU_DEP_1)
	v_mul_hi_u32 v18, 0xbc8f1391, v17
	v_lshrrev_b32_e32 v18, 15, v18
	s_delay_alu instid0(VALU_DEP_1) | instskip(SKIP_1) | instid1(VALU_DEP_2)
	v_mul_u32_u24_e32 v19, 0xadc8, v18
	v_mul_u32_u24_e32 v18, 0xd47, v18
	v_sub_nc_u32_e32 v19, v17, v19
	s_delay_alu instid0(VALU_DEP_2) | instskip(SKIP_1) | instid1(VALU_DEP_3)
	v_xor_b32_e32 v20, 0x7fffffff, v18
	v_add_nc_u32_e32 v17, -1, v17
	v_mul_lo_u32 v19, 0xbc8f, v19
	v_sub_nc_u32_e32 v21, 0, v18
	s_delay_alu instid0(VALU_DEP_2) | instskip(NEXT) | instid1(VALU_DEP_2)
	v_cmp_lt_u32_e32 vcc_lo, v19, v18
	v_cndmask_b32_e32 v18, v21, v20, vcc_lo
	s_delay_alu instid0(VALU_DEP_1) | instskip(NEXT) | instid1(VALU_DEP_1)
	v_add_nc_u32_e32 v19, v18, v19
	v_mul_hi_u32 v18, 0xbc8f1391, v19
	s_delay_alu instid0(VALU_DEP_1) | instskip(NEXT) | instid1(VALU_DEP_1)
	v_lshrrev_b32_e32 v18, 15, v18
	v_mul_u32_u24_e32 v20, 0xadc8, v18
	v_mul_u32_u24_e32 v18, 0xd47, v18
	s_delay_alu instid0(VALU_DEP_2) | instskip(NEXT) | instid1(VALU_DEP_2)
	v_sub_nc_u32_e32 v20, v19, v20
	v_xor_b32_e32 v21, 0x7fffffff, v18
	s_delay_alu instid0(VALU_DEP_2) | instskip(SKIP_1) | instid1(VALU_DEP_2)
	v_mul_lo_u32 v20, 0xbc8f, v20
	v_sub_nc_u32_e32 v22, 0, v18
	v_cmp_lt_u32_e32 vcc_lo, v20, v18
	s_delay_alu instid0(VALU_DEP_2) | instskip(NEXT) | instid1(VALU_DEP_1)
	v_dual_cndmask_b32 v18, v22, v21, vcc_lo :: v_dual_add_f32 v22, 1.0, v15
	v_add_nc_u32_e32 v20, v18, v20
	s_delay_alu instid0(VALU_DEP_1) | instskip(NEXT) | instid1(VALU_DEP_1)
	v_mul_hi_u32 v18, 0xbc8f1391, v20
	v_lshrrev_b32_e32 v18, 15, v18
	s_delay_alu instid0(VALU_DEP_1) | instskip(SKIP_2) | instid1(VALU_DEP_3)
	v_mul_u32_u24_e32 v21, 0xadc8, v18
	v_mul_u32_u24_e32 v23, 0xd47, v18
	v_cvt_f32_u32_e32 v18, v17
	v_sub_nc_u32_e32 v21, v20, v21
	s_delay_alu instid0(VALU_DEP_3) | instskip(SKIP_1) | instid1(VALU_DEP_3)
	v_xor_b32_e32 v17, 0x7fffffff, v23
	v_dual_sub_nc_u32 v24, 0, v23 :: v_dual_add_nc_u32 v20, -1, v20
	v_mul_lo_u32 v21, 0xbc8f, v21
	s_delay_alu instid0(VALU_DEP_2) | instskip(NEXT) | instid1(VALU_DEP_2)
	v_cvt_f32_u32_e32 v20, v20
	v_cmp_lt_u32_e32 vcc_lo, v21, v23
	s_delay_alu instid0(VALU_DEP_4) | instskip(NEXT) | instid1(VALU_DEP_1)
	v_dual_add_nc_u32 v19, -1, v19 :: v_dual_cndmask_b32 v17, v24, v17, vcc_lo
	v_cvt_f32_u32_e32 v19, v19
	s_delay_alu instid0(VALU_DEP_2) | instskip(NEXT) | instid1(VALU_DEP_2)
	v_add_nc_u32_e32 v17, v17, v21
	v_pk_fma_f32 v[18:19], v[18:19], s[20:21], 0 op_sel_hi:[1,0,0]
	s_delay_alu instid0(VALU_DEP_1) | instskip(NEXT) | instid1(VALU_DEP_1)
	v_pk_mul_f32 v[18:19], v[18:19], v[18:19]
	v_dual_add_nc_u32 v21, -1, v17 :: v_dual_add_f32 v23, v18, v19
	s_delay_alu instid0(VALU_DEP_1) | instskip(NEXT) | instid1(VALU_DEP_2)
	v_cvt_f32_u32_e32 v21, v21
	v_cmp_gt_f32_e32 vcc_lo, 0xf800000, v23
	s_delay_alu instid0(VALU_DEP_2) | instskip(NEXT) | instid1(VALU_DEP_1)
	v_pk_fma_f32 v[18:19], v[20:21], s[20:21], 0 op_sel_hi:[1,0,0]
	v_pk_mul_f32 v[18:19], v[18:19], v[18:19]
	s_delay_alu instid0(VALU_DEP_1) | instskip(NEXT) | instid1(VALU_DEP_1)
	v_add_f32_e32 v18, v18, v19
	v_dual_mul_f32 v20, 0x4f800000, v23 :: v_dual_mul_f32 v21, 0x4f800000, v18
	s_delay_alu instid0(VALU_DEP_1) | instskip(SKIP_1) | instid1(VALU_DEP_2)
	v_cndmask_b32_e32 v20, v23, v20, vcc_lo
	v_cmp_gt_f32_e64 s17, 0xf800000, v18
	v_sqrt_f32_e32 v19, v20
	v_nop
	s_delay_alu instid0(TRANS32_DEP_1) | instskip(NEXT) | instid1(VALU_DEP_1)
	v_dual_add_nc_u32 v23, -1, v19 :: v_dual_cndmask_b32 v18, v18, v21, s17
	v_dual_add_nc_u32 v21, 1, v19 :: v_dual_fma_f32 v24, -v23, v19, v20
	s_delay_alu instid0(VALU_DEP_2) | instskip(NEXT) | instid1(VALU_DEP_1)
	v_sqrt_f32_e32 v25, v18
	v_fma_f32 v26, -v21, v19, v20
	s_delay_alu instid0(VALU_DEP_2)
	v_cmp_ge_f32_e64 s18, 0, v24
	s_delay_alu instid0(TRANS32_DEP_1) | instid1(VALU_DEP_1)
	v_dual_cndmask_b32 v19, v19, v23, s18 :: v_dual_add_nc_u32 v23, -1, v25
	s_delay_alu instid0(VALU_DEP_3) | instskip(NEXT) | instid1(VALU_DEP_1)
	v_cmp_lt_f32_e64 s18, 0, v26
	v_cndmask_b32_e64 v19, v19, v21, s18
	s_delay_alu instid0(VALU_DEP_3) | instskip(NEXT) | instid1(VALU_DEP_1)
	v_dual_add_nc_u32 v21, 1, v25 :: v_dual_fma_f32 v24, -v23, v25, v18
	v_fma_f32 v27, -v21, v25, v18
	s_delay_alu instid0(VALU_DEP_2) | instskip(NEXT) | instid1(VALU_DEP_1)
	v_cmp_ge_f32_e64 s18, 0, v24
	v_cndmask_b32_e64 v23, v25, v23, s18
	v_mul_f32_e32 v26, 0x37800000, v19
	s_delay_alu instid0(VALU_DEP_4) | instskip(NEXT) | instid1(VALU_DEP_1)
	v_cmp_lt_f32_e64 s18, 0, v27
	v_cndmask_b32_e64 v21, v23, v21, s18
	s_delay_alu instid0(VALU_DEP_3) | instskip(SKIP_1) | instid1(VALU_DEP_2)
	v_cndmask_b32_e32 v19, v19, v26, vcc_lo
	v_cmp_class_f32_e64 vcc_lo, v20, 0x260
	v_cndmask_b32_e32 v19, v19, v20, vcc_lo
	s_delay_alu instid0(VALU_DEP_1) | instskip(SKIP_2) | instid1(VALU_DEP_2)
	v_cmp_nge_f32_e32 vcc_lo, 1.0, v19
	v_dual_cndmask_b32 v15, v22, v15 :: v_dual_mul_f32 v20, 0x37800000, v21
	v_cmp_class_f32_e64 vcc_lo, v18, 0x260
	v_dual_cndmask_b32 v19, v21, v20, s17 :: v_dual_add_f32 v20, 1.0, v15
	s_delay_alu instid0(VALU_DEP_1) | instskip(NEXT) | instid1(VALU_DEP_1)
	v_cndmask_b32_e32 v18, v19, v18, vcc_lo
	v_cmp_nge_f32_e32 vcc_lo, 1.0, v18
	s_delay_alu instid0(VALU_DEP_3)
	v_cndmask_b32_e32 v15, v20, v15, vcc_lo
	s_cbranch_scc1 .LBB27_318
; %bb.319:
	s_delay_alu instid0(VALU_DEP_1) | instskip(NEXT) | instid1(VALU_DEP_1)
	v_mul_f32_e32 v15, 4.0, v15
	v_div_scale_f32 v17, null, 0x461c4000, 0x461c4000, v15
	s_delay_alu instid0(VALU_DEP_1) | instskip(SKIP_1) | instid1(TRANS32_DEP_1)
	v_rcp_f32_e32 v18, v17
	v_nop
	v_fma_f32 v19, -v17, v18, 1.0
	s_delay_alu instid0(VALU_DEP_1) | instskip(SKIP_1) | instid1(VALU_DEP_1)
	v_fmac_f32_e32 v18, v19, v18
	v_div_scale_f32 v19, vcc_lo, v15, 0x461c4000, v15
	v_mul_f32_e32 v20, v19, v18
	s_delay_alu instid0(VALU_DEP_1) | instskip(NEXT) | instid1(VALU_DEP_1)
	v_fma_f32 v21, -v17, v20, v19
	v_fmac_f32_e32 v20, v21, v18
	s_delay_alu instid0(VALU_DEP_1) | instskip(NEXT) | instid1(VALU_DEP_1)
	v_fma_f32 v17, -v17, v20, v19
	v_div_fmas_f32 v17, v17, v18, v20
	s_delay_alu instid0(VALU_DEP_1)
	v_div_fixup_f32 v15, v17, 0x461c4000, v15
.LBB27_320:
	s_or_b32 exec_lo, exec_lo, s22
	v_add_f32_e32 v1, v2, v1
	s_delay_alu instid0(VALU_DEP_1) | instskip(NEXT) | instid1(VALU_DEP_1)
	v_cndmask_b32_e64 v1, v2, v1, s2
	v_add_f32_e32 v2, v4, v1
	s_delay_alu instid0(VALU_DEP_1) | instskip(SKIP_1) | instid1(VALU_DEP_1)
	v_cndmask_b32_e64 v1, v1, v2, s3
	s_min_u32 s3, s21, 0x100
	v_add_f32_e32 v2, v3, v1
	s_delay_alu instid0(VALU_DEP_1) | instskip(NEXT) | instid1(VALU_DEP_1)
	v_cndmask_b32_e64 v1, v1, v2, s4
	v_add_f32_e32 v2, v6, v1
	s_delay_alu instid0(VALU_DEP_1) | instskip(NEXT) | instid1(VALU_DEP_1)
	v_cndmask_b32_e64 v1, v1, v2, s5
	;; [unrolled: 3-line block ×10, first 2 shown]
	v_add_f32_e32 v2, v13, v1
	s_delay_alu instid0(VALU_DEP_1) | instskip(SKIP_1) | instid1(VALU_DEP_2)
	v_cndmask_b32_e64 v1, v1, v2, s14
	v_mbcnt_lo_u32_b32 v2, -1, 0
	v_add_f32_e32 v3, v16, v1
	s_delay_alu instid0(VALU_DEP_2) | instskip(SKIP_2) | instid1(VALU_DEP_4)
	v_cmp_ne_u32_e32 vcc_lo, 31, v2
	v_add_nc_u32_e32 v6, 1, v2
	v_cmp_gt_u32_e64 s2, 28, v2
	v_dual_add_nc_u32 v7, 2, v2 :: v_dual_cndmask_b32 v1, v1, v3, s15
	v_add_co_ci_u32_e64 v3, null, 0, v2, vcc_lo
	v_cmp_gt_u32_e32 vcc_lo, 30, v2
	s_delay_alu instid0(VALU_DEP_2) | instskip(SKIP_1) | instid1(VALU_DEP_2)
	v_dual_add_f32 v4, v15, v1 :: v_dual_lshlrev_b32 v3, 2, v3
	v_cndmask_b32_e64 v5, 0, 2, vcc_lo
	v_cndmask_b32_e64 v1, v1, v4, s16
	v_and_b32_e32 v4, 0xe0, v0
	s_delay_alu instid0(VALU_DEP_3) | instskip(SKIP_2) | instid1(VALU_DEP_1)
	v_add_lshl_u32 v5, v5, v2, 2
	ds_bpermute_b32 v3, v3, v1
	v_sub_nc_u32_e64 v4, s3, v4 clamp
	v_cmp_lt_u32_e32 vcc_lo, v6, v4
	v_cndmask_b32_e64 v6, 0, 4, s2
	v_cmp_lt_u32_e64 s2, v7, v4
	v_add_nc_u32_e32 v7, 4, v2
	s_delay_alu instid0(VALU_DEP_3) | instskip(SKIP_2) | instid1(VALU_DEP_1)
	v_add_lshl_u32 v6, v6, v2, 2
	s_wait_dscnt 0x0
	v_add_f32_e32 v3, v1, v3
	v_cndmask_b32_e32 v3, v1, v3, vcc_lo
	ds_bpermute_b32 v5, v5, v3
	s_wait_dscnt 0x0
	v_add_f32_e32 v5, v3, v5
	s_delay_alu instid0(VALU_DEP_1)
	v_cndmask_b32_e64 v3, v3, v5, s2
	v_cmp_gt_u32_e64 s2, 24, v2
	ds_bpermute_b32 v5, v6, v3
	v_cndmask_b32_e64 v6, 0, 8, s2
	v_cmp_lt_u32_e64 s2, v7, v4
	v_add_nc_u32_e32 v7, 8, v2
	s_delay_alu instid0(VALU_DEP_3) | instskip(SKIP_2) | instid1(VALU_DEP_1)
	v_add_lshl_u32 v6, v6, v2, 2
	s_wait_dscnt 0x0
	v_add_f32_e32 v5, v3, v5
	v_dual_cndmask_b32 v5, v3, v5, s2 :: v_dual_lshlrev_b32 v3, 2, v2
	v_cmp_lt_u32_e64 s2, v7, v4
	v_add_nc_u32_e32 v7, 16, v2
	ds_bpermute_b32 v6, v6, v5
	s_wait_dscnt 0x0
	v_dual_add_f32 v6, v5, v6 :: v_dual_bitop2_b32 v8, 64, v3 bitop3:0x54
	s_delay_alu instid0(VALU_DEP_1) | instskip(SKIP_4) | instid1(VALU_DEP_1)
	v_cndmask_b32_e64 v5, v5, v6, s2
	v_cmp_lt_u32_e64 s2, v7, v4
	ds_bpermute_b32 v6, v8, v5
	s_wait_dscnt 0x0
	v_add_f32_e32 v6, v5, v6
	v_cndmask_b32_e64 v4, v5, v6, s2
	s_mov_b32 s2, exec_lo
	s_delay_alu instid0(VALU_DEP_1)
	v_cndmask_b32_e32 v1, v1, v4, vcc_lo
	v_cmpx_eq_u32_e32 0, v2
; %bb.321:
	v_lshrrev_b32_e32 v4, 3, v0
	s_delay_alu instid0(VALU_DEP_1)
	v_and_b32_e32 v4, 28, v4
	ds_store_b32 v4, v1 offset:192
; %bb.322:
	s_or_b32 exec_lo, exec_lo, s2
	s_delay_alu instid0(SALU_CYCLE_1)
	s_mov_b32 s4, exec_lo
	s_wait_dscnt 0x0
	s_barrier_signal -1
	s_barrier_wait -1
	v_cmpx_gt_u32_e32 8, v0
	s_cbranch_execz .LBB27_324
; %bb.323:
	ds_load_b32 v1, v3 offset:192
	v_and_b32_e32 v4, 7, v2
	s_add_co_i32 s3, s3, 31
	v_or_b32_e32 v3, 16, v3
	s_lshr_b32 s3, s3, 5
	s_delay_alu instid0(VALU_DEP_2) | instskip(SKIP_1) | instid1(VALU_DEP_1)
	v_cmp_ne_u32_e32 vcc_lo, 7, v4
	v_add_co_ci_u32_e64 v5, null, 0, v2, vcc_lo
	v_lshlrev_b32_e32 v5, 2, v5
	v_cmp_gt_u32_e32 vcc_lo, 6, v4
	s_wait_dscnt 0x0
	ds_bpermute_b32 v5, v5, v1
	v_add_nc_u32_e32 v7, 1, v4
	v_cndmask_b32_e64 v6, 0, 2, vcc_lo
	s_delay_alu instid0(VALU_DEP_1) | instskip(SKIP_1) | instid1(VALU_DEP_1)
	v_add_lshl_u32 v2, v6, v2, 2
	v_dual_add_nc_u32 v6, 2, v4 :: v_dual_add_nc_u32 v4, 4, v4
	v_cmp_gt_u32_e64 s2, s3, v6
	s_wait_dscnt 0x0
	v_add_f32_e32 v5, v1, v5
	v_cmp_gt_u32_e32 vcc_lo, s3, v7
	s_delay_alu instid0(VALU_DEP_2) | instskip(SKIP_3) | instid1(VALU_DEP_1)
	v_cndmask_b32_e32 v5, v1, v5, vcc_lo
	ds_bpermute_b32 v2, v2, v5
	s_wait_dscnt 0x0
	v_add_f32_e32 v2, v5, v2
	v_cndmask_b32_e64 v2, v5, v2, s2
	v_cmp_gt_u32_e64 s2, s3, v4
	ds_bpermute_b32 v3, v3, v2
	s_wait_dscnt 0x0
	v_add_f32_e32 v3, v2, v3
	s_delay_alu instid0(VALU_DEP_1) | instskip(NEXT) | instid1(VALU_DEP_1)
	v_cndmask_b32_e64 v2, v2, v3, s2
	v_cndmask_b32_e32 v1, v1, v2, vcc_lo
.LBB27_324:
	s_or_b32 exec_lo, exec_lo, s4
.LBB27_325:
	v_cmp_eq_u32_e64 s2, 0, v0
	s_branch .LBB27_350
.LBB27_326:
	s_cmp_eq_u32 s42, 8
	s_cbranch_scc0 .LBB27_349
; %bb.327:
	s_bfe_u32 s2, ttmp6, 0x4000c
	s_and_b32 s3, ttmp6, 15
	s_add_co_i32 s2, s2, 1
	s_getreg_b32 s4, hwreg(HW_REG_IB_STS2, 6, 4)
	s_mul_i32 s2, ttmp9, s2
	s_mov_b32 s41, 0
	s_add_co_i32 s3, s3, s2
	s_cmp_eq_u32 s4, 0
	s_cselect_b32 s40, ttmp9, s3
	s_lshr_b64 s[2:3], s[36:37], 11
	s_lshl_b32 s6, s40, 11
	s_delay_alu instid0(SALU_CYCLE_1)
	s_add_co_i32 s11, s43, s6
	s_cmp_lg_u64 s[2:3], s[40:41]
	s_cbranch_scc0 .LBB27_351
; %bb.328:
	v_add_nc_u32_e32 v2, s11, v0
	s_movk_i32 s5, 0x2710
	s_brev_b32 s4, 12
	s_delay_alu instid0(VALU_DEP_1) | instskip(NEXT) | instid1(VALU_DEP_1)
	v_lshlrev_b32_e32 v1, 12, v2
	v_add3_u32 v1, v2, v1, 0x7ed55d16
	s_delay_alu instid0(VALU_DEP_1) | instskip(NEXT) | instid1(VALU_DEP_1)
	v_lshrrev_b32_e32 v3, 19, v1
	v_xor3_b32 v1, v1, v3, 0xc761c23c
	s_delay_alu instid0(VALU_DEP_1) | instskip(NEXT) | instid1(VALU_DEP_1)
	v_lshl_add_u32 v1, v1, 5, v1
	v_add_nc_u32_e32 v3, 0xe9f8cc1d, v1
	v_lshl_add_u32 v1, v1, 9, 0xaccf6200
	s_delay_alu instid0(VALU_DEP_1) | instskip(NEXT) | instid1(VALU_DEP_1)
	v_xor_b32_e32 v1, v3, v1
	v_lshlrev_b32_e32 v3, 3, v1
	s_delay_alu instid0(VALU_DEP_1) | instskip(NEXT) | instid1(VALU_DEP_1)
	v_add3_u32 v1, v1, v3, 0xfd7046c5
	v_lshrrev_b32_e32 v3, 16, v1
	s_delay_alu instid0(VALU_DEP_1) | instskip(NEXT) | instid1(VALU_DEP_1)
	v_xor3_b32 v1, v1, v3, 0xb55a4f09
	v_mul_hi_u32 v3, v1, 3
	s_delay_alu instid0(VALU_DEP_1) | instskip(NEXT) | instid1(VALU_DEP_1)
	v_sub_nc_u32_e32 v4, v1, v3
	v_lshrrev_b32_e32 v4, 1, v4
	s_delay_alu instid0(VALU_DEP_1) | instskip(NEXT) | instid1(VALU_DEP_1)
	v_add_nc_u32_e32 v3, v4, v3
	v_lshrrev_b32_e32 v3, 30, v3
	s_delay_alu instid0(VALU_DEP_1) | instskip(NEXT) | instid1(VALU_DEP_1)
	v_mul_lo_u32 v3, 0x7fffffff, v3
	v_sub_nc_u32_e32 v1, v1, v3
	s_delay_alu instid0(VALU_DEP_1)
	v_max_u32_e32 v3, 1, v1
	v_mov_b32_e32 v1, 0
.LBB27_329:                             ; =>This Inner Loop Header: Depth=1
	s_delay_alu instid0(VALU_DEP_2) | instskip(NEXT) | instid1(VALU_DEP_1)
	v_mul_hi_u32 v4, 0xbc8f1391, v3
	v_lshrrev_b32_e32 v4, 15, v4
	s_delay_alu instid0(VALU_DEP_1) | instskip(NEXT) | instid1(VALU_DEP_1)
	v_mul_u32_u24_e32 v5, 0xadc8, v4
	v_sub_nc_u32_e32 v3, v3, v5
	v_mul_u32_u24_e32 v4, 0xd47, v4
	s_delay_alu instid0(VALU_DEP_2) | instskip(NEXT) | instid1(VALU_DEP_2)
	v_mul_lo_u32 v3, 0xbc8f, v3
	v_xor_b32_e32 v5, 0x7fffffff, v4
	v_sub_nc_u32_e32 v6, 0, v4
	s_delay_alu instid0(VALU_DEP_3) | instskip(NEXT) | instid1(VALU_DEP_2)
	v_cmp_lt_u32_e32 vcc_lo, v3, v4
	v_cndmask_b32_e32 v4, v6, v5, vcc_lo
	s_delay_alu instid0(VALU_DEP_1) | instskip(NEXT) | instid1(VALU_DEP_1)
	v_add_nc_u32_e32 v3, v4, v3
	v_mul_hi_u32 v4, 0xbc8f1391, v3
	s_delay_alu instid0(VALU_DEP_1) | instskip(NEXT) | instid1(VALU_DEP_1)
	v_lshrrev_b32_e32 v4, 15, v4
	v_mul_u32_u24_e32 v5, 0xadc8, v4
	v_mul_u32_u24_e32 v4, 0xd47, v4
	s_delay_alu instid0(VALU_DEP_2) | instskip(NEXT) | instid1(VALU_DEP_2)
	v_sub_nc_u32_e32 v5, v3, v5
	v_xor_b32_e32 v6, 0x7fffffff, v4
	v_add_nc_u32_e32 v3, -1, v3
	s_delay_alu instid0(VALU_DEP_3) | instskip(SKIP_1) | instid1(VALU_DEP_2)
	v_mul_lo_u32 v5, 0xbc8f, v5
	v_sub_nc_u32_e32 v7, 0, v4
	v_cmp_lt_u32_e32 vcc_lo, v5, v4
	s_delay_alu instid0(VALU_DEP_2) | instskip(NEXT) | instid1(VALU_DEP_1)
	v_cndmask_b32_e32 v4, v7, v6, vcc_lo
	v_add_nc_u32_e32 v5, v4, v5
	s_delay_alu instid0(VALU_DEP_1) | instskip(NEXT) | instid1(VALU_DEP_1)
	v_mul_hi_u32 v4, 0xbc8f1391, v5
	v_lshrrev_b32_e32 v4, 15, v4
	s_delay_alu instid0(VALU_DEP_1) | instskip(SKIP_1) | instid1(VALU_DEP_2)
	v_mul_u32_u24_e32 v6, 0xadc8, v4
	v_mul_u32_u24_e32 v4, 0xd47, v4
	v_sub_nc_u32_e32 v6, v5, v6
	s_delay_alu instid0(VALU_DEP_2) | instskip(NEXT) | instid1(VALU_DEP_2)
	v_xor_b32_e32 v7, 0x7fffffff, v4
	v_mul_lo_u32 v6, 0xbc8f, v6
	v_sub_nc_u32_e32 v8, 0, v4
	s_delay_alu instid0(VALU_DEP_2) | instskip(NEXT) | instid1(VALU_DEP_2)
	v_cmp_lt_u32_e32 vcc_lo, v6, v4
	v_dual_cndmask_b32 v4, v8, v7, vcc_lo :: v_dual_add_f32 v8, 1.0, v1
	s_delay_alu instid0(VALU_DEP_1) | instskip(NEXT) | instid1(VALU_DEP_1)
	v_add_nc_u32_e32 v6, v4, v6
	v_mul_hi_u32 v4, 0xbc8f1391, v6
	s_delay_alu instid0(VALU_DEP_1) | instskip(NEXT) | instid1(VALU_DEP_1)
	v_lshrrev_b32_e32 v4, 15, v4
	v_mul_u32_u24_e32 v7, 0xadc8, v4
	v_mul_u32_u24_e32 v9, 0xd47, v4
	v_cvt_f32_u32_e32 v4, v3
	s_delay_alu instid0(VALU_DEP_3) | instskip(NEXT) | instid1(VALU_DEP_3)
	v_sub_nc_u32_e32 v7, v6, v7
	v_xor_b32_e32 v3, 0x7fffffff, v9
	v_dual_sub_nc_u32 v10, 0, v9 :: v_dual_add_nc_u32 v6, -1, v6
	s_delay_alu instid0(VALU_DEP_3) | instskip(NEXT) | instid1(VALU_DEP_2)
	v_mul_lo_u32 v7, 0xbc8f, v7
	v_cvt_f32_u32_e32 v6, v6
	s_delay_alu instid0(VALU_DEP_2) | instskip(NEXT) | instid1(VALU_DEP_4)
	v_cmp_lt_u32_e32 vcc_lo, v7, v9
	v_dual_add_nc_u32 v5, -1, v5 :: v_dual_cndmask_b32 v3, v10, v3, vcc_lo
	s_delay_alu instid0(VALU_DEP_1) | instskip(NEXT) | instid1(VALU_DEP_2)
	v_cvt_f32_u32_e32 v5, v5
	v_add_nc_u32_e32 v3, v3, v7
	s_delay_alu instid0(VALU_DEP_2) | instskip(NEXT) | instid1(VALU_DEP_1)
	v_pk_fma_f32 v[4:5], v[4:5], s[4:5], 0 op_sel_hi:[1,0,0]
	v_pk_mul_f32 v[4:5], v[4:5], v[4:5]
	s_delay_alu instid0(VALU_DEP_1) | instskip(NEXT) | instid1(VALU_DEP_1)
	v_dual_add_nc_u32 v7, -1, v3 :: v_dual_add_f32 v9, v4, v5
	v_cvt_f32_u32_e32 v7, v7
	s_delay_alu instid0(VALU_DEP_2) | instskip(NEXT) | instid1(VALU_DEP_2)
	v_cmp_gt_f32_e32 vcc_lo, 0xf800000, v9
	v_pk_fma_f32 v[4:5], v[6:7], s[4:5], 0 op_sel_hi:[1,0,0]
	s_add_co_i32 s5, s5, -2
	s_delay_alu instid0(SALU_CYCLE_1) | instskip(NEXT) | instid1(VALU_DEP_1)
	s_cmp_lg_u32 s5, 0
	v_pk_mul_f32 v[4:5], v[4:5], v[4:5]
	s_delay_alu instid0(VALU_DEP_1) | instskip(NEXT) | instid1(VALU_DEP_1)
	v_add_f32_e32 v4, v4, v5
	v_dual_mul_f32 v6, 0x4f800000, v9 :: v_dual_mul_f32 v7, 0x4f800000, v4
	s_delay_alu instid0(VALU_DEP_1) | instskip(SKIP_1) | instid1(VALU_DEP_2)
	v_cndmask_b32_e32 v6, v9, v6, vcc_lo
	v_cmp_gt_f32_e64 s2, 0xf800000, v4
	v_sqrt_f32_e32 v5, v6
	v_nop
	s_delay_alu instid0(TRANS32_DEP_1) | instskip(NEXT) | instid1(VALU_DEP_1)
	v_dual_add_nc_u32 v9, -1, v5 :: v_dual_cndmask_b32 v4, v4, v7, s2
	v_dual_add_nc_u32 v7, 1, v5 :: v_dual_fma_f32 v10, -v9, v5, v6
	s_delay_alu instid0(VALU_DEP_2) | instskip(NEXT) | instid1(VALU_DEP_1)
	v_sqrt_f32_e32 v11, v4
	v_fma_f32 v12, -v7, v5, v6
	s_delay_alu instid0(VALU_DEP_2)
	v_cmp_ge_f32_e64 s3, 0, v10
	s_delay_alu instid0(TRANS32_DEP_1) | instid1(VALU_DEP_1)
	v_dual_cndmask_b32 v5, v5, v9, s3 :: v_dual_add_nc_u32 v9, -1, v11
	s_delay_alu instid0(VALU_DEP_3) | instskip(NEXT) | instid1(VALU_DEP_1)
	v_cmp_lt_f32_e64 s3, 0, v12
	v_cndmask_b32_e64 v5, v5, v7, s3
	s_delay_alu instid0(VALU_DEP_3) | instskip(NEXT) | instid1(VALU_DEP_1)
	v_dual_add_nc_u32 v7, 1, v11 :: v_dual_fma_f32 v10, -v9, v11, v4
	v_fma_f32 v13, -v7, v11, v4
	s_delay_alu instid0(VALU_DEP_2) | instskip(NEXT) | instid1(VALU_DEP_1)
	v_cmp_ge_f32_e64 s3, 0, v10
	v_cndmask_b32_e64 v9, v11, v9, s3
	v_mul_f32_e32 v12, 0x37800000, v5
	s_delay_alu instid0(VALU_DEP_4) | instskip(NEXT) | instid1(VALU_DEP_1)
	v_cmp_lt_f32_e64 s3, 0, v13
	v_cndmask_b32_e64 v7, v9, v7, s3
	s_delay_alu instid0(VALU_DEP_3) | instskip(SKIP_1) | instid1(VALU_DEP_2)
	v_cndmask_b32_e32 v5, v5, v12, vcc_lo
	v_cmp_class_f32_e64 vcc_lo, v6, 0x260
	v_cndmask_b32_e32 v5, v5, v6, vcc_lo
	s_delay_alu instid0(VALU_DEP_1) | instskip(SKIP_2) | instid1(VALU_DEP_2)
	v_cmp_nge_f32_e32 vcc_lo, 1.0, v5
	v_dual_cndmask_b32 v1, v8, v1 :: v_dual_mul_f32 v6, 0x37800000, v7
	v_cmp_class_f32_e64 vcc_lo, v4, 0x260
	v_dual_cndmask_b32 v5, v7, v6, s2 :: v_dual_add_f32 v6, 1.0, v1
	s_delay_alu instid0(VALU_DEP_1) | instskip(NEXT) | instid1(VALU_DEP_1)
	v_cndmask_b32_e32 v4, v5, v4, vcc_lo
	v_cmp_nge_f32_e32 vcc_lo, 1.0, v4
	s_delay_alu instid0(VALU_DEP_3)
	v_cndmask_b32_e32 v1, v6, v1, vcc_lo
	s_cbranch_scc1 .LBB27_329
; %bb.330:
	v_lshl_add_u32 v3, v2, 12, v2
	s_movk_i32 s5, 0x2710
	s_brev_b32 s4, 12
	s_delay_alu instid0(VALU_DEP_1) | instskip(NEXT) | instid1(VALU_DEP_1)
	v_add_nc_u32_e32 v2, 0x7ee55e16, v3
	v_lshrrev_b32_e32 v4, 19, v2
	s_delay_alu instid0(VALU_DEP_1) | instskip(NEXT) | instid1(VALU_DEP_1)
	v_xor3_b32 v2, v2, v4, 0xc761c23c
	v_lshl_add_u32 v2, v2, 5, v2
	s_delay_alu instid0(VALU_DEP_1) | instskip(SKIP_1) | instid1(VALU_DEP_1)
	v_add_nc_u32_e32 v4, 0xe9f8cc1d, v2
	v_lshl_add_u32 v2, v2, 9, 0xaccf6200
	v_xor_b32_e32 v2, v4, v2
	s_delay_alu instid0(VALU_DEP_1) | instskip(NEXT) | instid1(VALU_DEP_1)
	v_lshlrev_b32_e32 v4, 3, v2
	v_add3_u32 v2, v2, v4, 0xfd7046c5
	s_delay_alu instid0(VALU_DEP_1) | instskip(NEXT) | instid1(VALU_DEP_1)
	v_lshrrev_b32_e32 v4, 16, v2
	v_xor3_b32 v2, v2, v4, 0xb55a4f09
	s_delay_alu instid0(VALU_DEP_1) | instskip(NEXT) | instid1(VALU_DEP_1)
	v_mul_hi_u32 v4, v2, 3
	v_sub_nc_u32_e32 v5, v2, v4
	s_delay_alu instid0(VALU_DEP_1) | instskip(NEXT) | instid1(VALU_DEP_1)
	v_lshrrev_b32_e32 v5, 1, v5
	v_add_nc_u32_e32 v4, v5, v4
	s_delay_alu instid0(VALU_DEP_1) | instskip(NEXT) | instid1(VALU_DEP_1)
	v_lshrrev_b32_e32 v4, 30, v4
	v_mul_lo_u32 v4, 0x7fffffff, v4
	s_delay_alu instid0(VALU_DEP_1) | instskip(NEXT) | instid1(VALU_DEP_1)
	v_sub_nc_u32_e32 v2, v2, v4
	v_max_u32_e32 v4, 1, v2
	v_mov_b32_e32 v2, 0
.LBB27_331:                             ; =>This Inner Loop Header: Depth=1
	s_delay_alu instid0(VALU_DEP_2) | instskip(NEXT) | instid1(VALU_DEP_1)
	v_mul_hi_u32 v5, 0xbc8f1391, v4
	v_dual_add_f32 v10, 1.0, v2 :: v_dual_lshrrev_b32 v5, 15, v5
	s_delay_alu instid0(VALU_DEP_1) | instskip(NEXT) | instid1(VALU_DEP_1)
	v_mul_u32_u24_e32 v6, 0xadc8, v5
	v_sub_nc_u32_e32 v4, v4, v6
	v_mul_u32_u24_e32 v5, 0xd47, v5
	s_delay_alu instid0(VALU_DEP_2) | instskip(NEXT) | instid1(VALU_DEP_2)
	v_mul_lo_u32 v4, 0xbc8f, v4
	v_xor_b32_e32 v6, 0x7fffffff, v5
	v_sub_nc_u32_e32 v7, 0, v5
	s_delay_alu instid0(VALU_DEP_3) | instskip(NEXT) | instid1(VALU_DEP_2)
	v_cmp_lt_u32_e32 vcc_lo, v4, v5
	v_cndmask_b32_e32 v5, v7, v6, vcc_lo
	s_delay_alu instid0(VALU_DEP_1) | instskip(NEXT) | instid1(VALU_DEP_1)
	v_add_nc_u32_e32 v4, v5, v4
	v_mul_hi_u32 v5, 0xbc8f1391, v4
	s_delay_alu instid0(VALU_DEP_1) | instskip(NEXT) | instid1(VALU_DEP_1)
	v_lshrrev_b32_e32 v5, 15, v5
	v_mul_u32_u24_e32 v6, 0xadc8, v5
	v_mul_u32_u24_e32 v5, 0xd47, v5
	s_delay_alu instid0(VALU_DEP_2) | instskip(NEXT) | instid1(VALU_DEP_2)
	v_sub_nc_u32_e32 v6, v4, v6
	v_xor_b32_e32 v7, 0x7fffffff, v5
	v_add_nc_u32_e32 v4, -1, v4
	s_delay_alu instid0(VALU_DEP_3) | instskip(SKIP_1) | instid1(VALU_DEP_2)
	v_mul_lo_u32 v6, 0xbc8f, v6
	v_sub_nc_u32_e32 v8, 0, v5
	v_cmp_lt_u32_e32 vcc_lo, v6, v5
	s_delay_alu instid0(VALU_DEP_2) | instskip(NEXT) | instid1(VALU_DEP_1)
	v_cndmask_b32_e32 v5, v8, v7, vcc_lo
	v_add_nc_u32_e32 v5, v5, v6
	s_delay_alu instid0(VALU_DEP_1) | instskip(NEXT) | instid1(VALU_DEP_1)
	v_mul_hi_u32 v6, 0xbc8f1391, v5
	v_lshrrev_b32_e32 v6, 15, v6
	s_delay_alu instid0(VALU_DEP_1) | instskip(SKIP_1) | instid1(VALU_DEP_2)
	v_mul_u32_u24_e32 v7, 0xadc8, v6
	v_mul_u32_u24_e32 v6, 0xd47, v6
	v_sub_nc_u32_e32 v7, v5, v7
	s_delay_alu instid0(VALU_DEP_2) | instskip(SKIP_1) | instid1(VALU_DEP_3)
	v_xor_b32_e32 v8, 0x7fffffff, v6
	v_dual_sub_nc_u32 v9, 0, v6 :: v_dual_add_nc_u32 v5, -1, v5
	v_mul_lo_u32 v7, 0xbc8f, v7
	s_delay_alu instid0(VALU_DEP_1) | instskip(NEXT) | instid1(VALU_DEP_3)
	v_cmp_lt_u32_e32 vcc_lo, v7, v6
	v_cndmask_b32_e32 v6, v9, v8, vcc_lo
	s_delay_alu instid0(VALU_DEP_1) | instskip(NEXT) | instid1(VALU_DEP_1)
	v_add_nc_u32_e32 v8, v6, v7
	v_mul_hi_u32 v6, 0xbc8f1391, v8
	s_delay_alu instid0(VALU_DEP_1) | instskip(NEXT) | instid1(VALU_DEP_1)
	v_lshrrev_b32_e32 v6, 15, v6
	v_mul_u32_u24_e32 v7, 0xadc8, v6
	s_delay_alu instid0(VALU_DEP_1) | instskip(NEXT) | instid1(VALU_DEP_1)
	v_sub_nc_u32_e32 v7, v8, v7
	v_mul_lo_u32 v9, 0xbc8f, v7
	v_mul_u32_u24_e32 v7, 0xd47, v6
	v_cvt_f32_u32_e32 v6, v4
	s_delay_alu instid0(VALU_DEP_2) | instskip(SKIP_4) | instid1(VALU_DEP_2)
	v_xor_b32_e32 v4, 0x7fffffff, v7
	v_sub_nc_u32_e32 v11, 0, v7
	v_cmp_lt_u32_e32 vcc_lo, v9, v7
	v_cvt_f32_u32_e32 v7, v5
	v_add_nc_u32_e32 v5, -1, v8
	v_pk_fma_f32 v[6:7], v[6:7], s[4:5], 0 op_sel_hi:[1,0,0]
	s_delay_alu instid0(VALU_DEP_2) | instskip(NEXT) | instid1(VALU_DEP_2)
	v_cvt_f32_u32_e32 v8, v5
	v_pk_mul_f32 v[6:7], v[6:7], v[6:7]
	s_delay_alu instid0(VALU_DEP_1) | instskip(NEXT) | instid1(VALU_DEP_1)
	v_dual_cndmask_b32 v4, v11, v4 :: v_dual_add_f32 v5, v6, v7
	v_add_nc_u32_e32 v4, v4, v9
	s_delay_alu instid0(VALU_DEP_2) | instskip(NEXT) | instid1(VALU_DEP_2)
	v_cmp_gt_f32_e32 vcc_lo, 0xf800000, v5
	v_add_nc_u32_e32 v9, -1, v4
	s_delay_alu instid0(VALU_DEP_1) | instskip(NEXT) | instid1(VALU_DEP_1)
	v_cvt_f32_u32_e32 v9, v9
	v_pk_fma_f32 v[6:7], v[8:9], s[4:5], 0 op_sel_hi:[1,0,0]
	v_mul_f32_e32 v8, 0x4f800000, v5
	s_add_co_i32 s5, s5, -2
	s_delay_alu instid0(SALU_CYCLE_1) | instskip(NEXT) | instid1(VALU_DEP_2)
	s_cmp_lg_u32 s5, 0
	v_pk_mul_f32 v[6:7], v[6:7], v[6:7]
	s_delay_alu instid0(VALU_DEP_1) | instskip(NEXT) | instid1(VALU_DEP_1)
	v_dual_add_f32 v6, v6, v7 :: v_dual_cndmask_b32 v5, v5, v8
	v_mul_f32_e32 v8, 0x4f800000, v6
	s_delay_alu instid0(VALU_DEP_2)
	v_sqrt_f32_e32 v7, v5
	v_cmp_gt_f32_e64 s2, 0xf800000, v6
	s_delay_alu instid0(TRANS32_DEP_1) | instid1(VALU_DEP_1)
	v_dual_cndmask_b32 v6, v6, v8, s2 :: v_dual_add_nc_u32 v9, -1, v7
	v_add_nc_u32_e32 v8, 1, v7
	s_delay_alu instid0(VALU_DEP_2) | instskip(NEXT) | instid1(VALU_DEP_2)
	v_sqrt_f32_e32 v12, v6
	v_fma_f32 v11, -v9, v7, v5
	s_delay_alu instid0(VALU_DEP_1) | instskip(NEXT) | instid1(VALU_DEP_1)
	v_cmp_ge_f32_e64 s3, 0, v11
	v_dual_fma_f32 v13, -v8, v7, v5 :: v_dual_cndmask_b32 v7, v7, v9, s3
	s_delay_alu instid0(VALU_DEP_1) | instskip(NEXT) | instid1(TRANS32_DEP_1)
	v_cmp_lt_f32_e64 s3, 0, v13
	v_add_nc_u32_e32 v9, -1, v12
	s_delay_alu instid0(VALU_DEP_2) | instskip(NEXT) | instid1(VALU_DEP_2)
	v_cndmask_b32_e64 v7, v7, v8, s3
	v_dual_add_nc_u32 v8, 1, v12 :: v_dual_fma_f32 v11, -v9, v12, v6
	s_delay_alu instid0(VALU_DEP_1) | instskip(NEXT) | instid1(VALU_DEP_2)
	v_fma_f32 v14, -v8, v12, v6
	v_cmp_ge_f32_e64 s3, 0, v11
	s_delay_alu instid0(VALU_DEP_1) | instskip(SKIP_1) | instid1(VALU_DEP_4)
	v_cndmask_b32_e64 v9, v12, v9, s3
	v_mul_f32_e32 v13, 0x37800000, v7
	v_cmp_lt_f32_e64 s3, 0, v14
	s_delay_alu instid0(VALU_DEP_1) | instskip(SKIP_1) | instid1(VALU_DEP_2)
	v_dual_cndmask_b32 v7, v7, v13, vcc_lo :: v_dual_cndmask_b32 v8, v9, v8, s3
	v_cmp_class_f32_e64 vcc_lo, v5, 0x260
	v_cndmask_b32_e32 v5, v7, v5, vcc_lo
	s_delay_alu instid0(VALU_DEP_3) | instskip(NEXT) | instid1(VALU_DEP_2)
	v_mul_f32_e32 v7, 0x37800000, v8
	v_cmp_nge_f32_e32 vcc_lo, 1.0, v5
	s_delay_alu instid0(VALU_DEP_2) | instskip(SKIP_1) | instid1(VALU_DEP_2)
	v_dual_cndmask_b32 v2, v10, v2, vcc_lo :: v_dual_cndmask_b32 v5, v8, v7, s2
	v_cmp_class_f32_e64 vcc_lo, v6, 0x260
	v_add_f32_e32 v7, 1.0, v2
	s_delay_alu instid0(VALU_DEP_3) | instskip(NEXT) | instid1(VALU_DEP_1)
	v_cndmask_b32_e32 v5, v5, v6, vcc_lo
	v_cmp_nge_f32_e32 vcc_lo, 1.0, v5
	s_delay_alu instid0(VALU_DEP_3)
	v_cndmask_b32_e32 v2, v7, v2, vcc_lo
	s_cbranch_scc1 .LBB27_331
; %bb.332:
	v_add_nc_u32_e32 v4, 0x7ef55f16, v3
	s_movk_i32 s5, 0x2710
	s_brev_b32 s4, 12
	s_delay_alu instid0(VALU_DEP_1) | instskip(NEXT) | instid1(VALU_DEP_1)
	v_lshrrev_b32_e32 v5, 19, v4
	v_xor3_b32 v4, v4, v5, 0xc761c23c
	s_delay_alu instid0(VALU_DEP_1) | instskip(NEXT) | instid1(VALU_DEP_1)
	v_lshl_add_u32 v4, v4, 5, v4
	v_add_nc_u32_e32 v5, 0xe9f8cc1d, v4
	v_lshl_add_u32 v4, v4, 9, 0xaccf6200
	s_delay_alu instid0(VALU_DEP_1) | instskip(NEXT) | instid1(VALU_DEP_1)
	v_xor_b32_e32 v4, v5, v4
	v_lshlrev_b32_e32 v5, 3, v4
	s_delay_alu instid0(VALU_DEP_1) | instskip(NEXT) | instid1(VALU_DEP_1)
	v_add3_u32 v4, v4, v5, 0xfd7046c5
	v_lshrrev_b32_e32 v5, 16, v4
	s_delay_alu instid0(VALU_DEP_1) | instskip(NEXT) | instid1(VALU_DEP_1)
	v_xor3_b32 v4, v4, v5, 0xb55a4f09
	v_mul_hi_u32 v5, v4, 3
	s_delay_alu instid0(VALU_DEP_1) | instskip(NEXT) | instid1(VALU_DEP_1)
	v_sub_nc_u32_e32 v6, v4, v5
	v_lshrrev_b32_e32 v6, 1, v6
	s_delay_alu instid0(VALU_DEP_1) | instskip(NEXT) | instid1(VALU_DEP_1)
	v_add_nc_u32_e32 v5, v6, v5
	v_lshrrev_b32_e32 v5, 30, v5
	s_delay_alu instid0(VALU_DEP_1) | instskip(NEXT) | instid1(VALU_DEP_1)
	v_mul_lo_u32 v5, 0x7fffffff, v5
	v_sub_nc_u32_e32 v4, v4, v5
	s_delay_alu instid0(VALU_DEP_1)
	v_max_u32_e32 v5, 1, v4
	v_mov_b32_e32 v4, 0
.LBB27_333:                             ; =>This Inner Loop Header: Depth=1
	s_delay_alu instid0(VALU_DEP_2) | instskip(NEXT) | instid1(VALU_DEP_1)
	v_mul_hi_u32 v6, 0xbc8f1391, v5
	v_lshrrev_b32_e32 v6, 15, v6
	s_delay_alu instid0(VALU_DEP_1) | instskip(NEXT) | instid1(VALU_DEP_1)
	v_mul_u32_u24_e32 v7, 0xadc8, v6
	v_sub_nc_u32_e32 v5, v5, v7
	v_mul_u32_u24_e32 v6, 0xd47, v6
	s_delay_alu instid0(VALU_DEP_2) | instskip(NEXT) | instid1(VALU_DEP_2)
	v_mul_lo_u32 v5, 0xbc8f, v5
	v_xor_b32_e32 v7, 0x7fffffff, v6
	v_sub_nc_u32_e32 v8, 0, v6
	s_delay_alu instid0(VALU_DEP_3) | instskip(NEXT) | instid1(VALU_DEP_2)
	v_cmp_lt_u32_e32 vcc_lo, v5, v6
	v_cndmask_b32_e32 v6, v8, v7, vcc_lo
	s_delay_alu instid0(VALU_DEP_1) | instskip(NEXT) | instid1(VALU_DEP_1)
	v_add_nc_u32_e32 v5, v6, v5
	v_mul_hi_u32 v6, 0xbc8f1391, v5
	s_delay_alu instid0(VALU_DEP_1) | instskip(NEXT) | instid1(VALU_DEP_1)
	v_lshrrev_b32_e32 v6, 15, v6
	v_mul_u32_u24_e32 v7, 0xadc8, v6
	v_mul_u32_u24_e32 v6, 0xd47, v6
	s_delay_alu instid0(VALU_DEP_2) | instskip(NEXT) | instid1(VALU_DEP_2)
	v_sub_nc_u32_e32 v7, v5, v7
	v_xor_b32_e32 v8, 0x7fffffff, v6
	v_add_nc_u32_e32 v5, -1, v5
	s_delay_alu instid0(VALU_DEP_3) | instskip(SKIP_1) | instid1(VALU_DEP_2)
	v_mul_lo_u32 v7, 0xbc8f, v7
	v_sub_nc_u32_e32 v9, 0, v6
	v_cmp_lt_u32_e32 vcc_lo, v7, v6
	s_delay_alu instid0(VALU_DEP_2) | instskip(NEXT) | instid1(VALU_DEP_1)
	v_cndmask_b32_e32 v6, v9, v8, vcc_lo
	v_add_nc_u32_e32 v7, v6, v7
	s_delay_alu instid0(VALU_DEP_1) | instskip(NEXT) | instid1(VALU_DEP_1)
	v_mul_hi_u32 v6, 0xbc8f1391, v7
	v_lshrrev_b32_e32 v6, 15, v6
	s_delay_alu instid0(VALU_DEP_1) | instskip(SKIP_1) | instid1(VALU_DEP_2)
	v_mul_u32_u24_e32 v8, 0xadc8, v6
	v_mul_u32_u24_e32 v6, 0xd47, v6
	v_sub_nc_u32_e32 v8, v7, v8
	s_delay_alu instid0(VALU_DEP_2) | instskip(NEXT) | instid1(VALU_DEP_2)
	v_xor_b32_e32 v9, 0x7fffffff, v6
	v_mul_lo_u32 v8, 0xbc8f, v8
	v_sub_nc_u32_e32 v10, 0, v6
	s_delay_alu instid0(VALU_DEP_2) | instskip(NEXT) | instid1(VALU_DEP_2)
	v_cmp_lt_u32_e32 vcc_lo, v8, v6
	v_dual_cndmask_b32 v6, v10, v9, vcc_lo :: v_dual_add_f32 v10, 1.0, v4
	s_delay_alu instid0(VALU_DEP_1) | instskip(NEXT) | instid1(VALU_DEP_1)
	v_add_nc_u32_e32 v8, v6, v8
	v_mul_hi_u32 v6, 0xbc8f1391, v8
	s_delay_alu instid0(VALU_DEP_1) | instskip(NEXT) | instid1(VALU_DEP_1)
	v_lshrrev_b32_e32 v6, 15, v6
	v_mul_u32_u24_e32 v9, 0xadc8, v6
	v_mul_u32_u24_e32 v11, 0xd47, v6
	v_cvt_f32_u32_e32 v6, v5
	s_delay_alu instid0(VALU_DEP_3) | instskip(NEXT) | instid1(VALU_DEP_3)
	v_sub_nc_u32_e32 v9, v8, v9
	v_xor_b32_e32 v5, 0x7fffffff, v11
	v_dual_sub_nc_u32 v12, 0, v11 :: v_dual_add_nc_u32 v8, -1, v8
	s_delay_alu instid0(VALU_DEP_3) | instskip(NEXT) | instid1(VALU_DEP_2)
	v_mul_lo_u32 v9, 0xbc8f, v9
	v_cvt_f32_u32_e32 v8, v8
	s_delay_alu instid0(VALU_DEP_2) | instskip(NEXT) | instid1(VALU_DEP_4)
	v_cmp_lt_u32_e32 vcc_lo, v9, v11
	v_dual_add_nc_u32 v7, -1, v7 :: v_dual_cndmask_b32 v5, v12, v5, vcc_lo
	s_delay_alu instid0(VALU_DEP_1) | instskip(NEXT) | instid1(VALU_DEP_2)
	v_cvt_f32_u32_e32 v7, v7
	v_add_nc_u32_e32 v5, v5, v9
	s_delay_alu instid0(VALU_DEP_2) | instskip(NEXT) | instid1(VALU_DEP_1)
	v_pk_fma_f32 v[6:7], v[6:7], s[4:5], 0 op_sel_hi:[1,0,0]
	v_pk_mul_f32 v[6:7], v[6:7], v[6:7]
	s_delay_alu instid0(VALU_DEP_1) | instskip(NEXT) | instid1(VALU_DEP_1)
	v_dual_add_nc_u32 v9, -1, v5 :: v_dual_add_f32 v11, v6, v7
	v_cvt_f32_u32_e32 v9, v9
	s_delay_alu instid0(VALU_DEP_2) | instskip(NEXT) | instid1(VALU_DEP_2)
	v_cmp_gt_f32_e32 vcc_lo, 0xf800000, v11
	v_pk_fma_f32 v[6:7], v[8:9], s[4:5], 0 op_sel_hi:[1,0,0]
	s_add_co_i32 s5, s5, -2
	s_delay_alu instid0(SALU_CYCLE_1) | instskip(NEXT) | instid1(VALU_DEP_1)
	s_cmp_lg_u32 s5, 0
	v_pk_mul_f32 v[6:7], v[6:7], v[6:7]
	s_delay_alu instid0(VALU_DEP_1) | instskip(NEXT) | instid1(VALU_DEP_1)
	v_add_f32_e32 v6, v6, v7
	v_dual_mul_f32 v8, 0x4f800000, v11 :: v_dual_mul_f32 v9, 0x4f800000, v6
	s_delay_alu instid0(VALU_DEP_1) | instskip(SKIP_1) | instid1(VALU_DEP_2)
	v_cndmask_b32_e32 v8, v11, v8, vcc_lo
	v_cmp_gt_f32_e64 s2, 0xf800000, v6
	v_sqrt_f32_e32 v7, v8
	v_nop
	s_delay_alu instid0(TRANS32_DEP_1) | instskip(NEXT) | instid1(VALU_DEP_1)
	v_dual_add_nc_u32 v11, -1, v7 :: v_dual_cndmask_b32 v6, v6, v9, s2
	v_dual_add_nc_u32 v9, 1, v7 :: v_dual_fma_f32 v12, -v11, v7, v8
	s_delay_alu instid0(VALU_DEP_2) | instskip(NEXT) | instid1(VALU_DEP_1)
	v_sqrt_f32_e32 v13, v6
	v_fma_f32 v14, -v9, v7, v8
	s_delay_alu instid0(VALU_DEP_2)
	v_cmp_ge_f32_e64 s3, 0, v12
	s_delay_alu instid0(TRANS32_DEP_1) | instid1(VALU_DEP_1)
	v_dual_cndmask_b32 v7, v7, v11, s3 :: v_dual_add_nc_u32 v11, -1, v13
	s_delay_alu instid0(VALU_DEP_3) | instskip(NEXT) | instid1(VALU_DEP_1)
	v_cmp_lt_f32_e64 s3, 0, v14
	v_cndmask_b32_e64 v7, v7, v9, s3
	s_delay_alu instid0(VALU_DEP_3) | instskip(NEXT) | instid1(VALU_DEP_1)
	v_dual_add_nc_u32 v9, 1, v13 :: v_dual_fma_f32 v12, -v11, v13, v6
	v_fma_f32 v15, -v9, v13, v6
	s_delay_alu instid0(VALU_DEP_2) | instskip(NEXT) | instid1(VALU_DEP_1)
	v_cmp_ge_f32_e64 s3, 0, v12
	v_cndmask_b32_e64 v11, v13, v11, s3
	v_mul_f32_e32 v14, 0x37800000, v7
	s_delay_alu instid0(VALU_DEP_4) | instskip(NEXT) | instid1(VALU_DEP_1)
	v_cmp_lt_f32_e64 s3, 0, v15
	v_cndmask_b32_e64 v9, v11, v9, s3
	s_delay_alu instid0(VALU_DEP_3) | instskip(SKIP_1) | instid1(VALU_DEP_2)
	v_cndmask_b32_e32 v7, v7, v14, vcc_lo
	v_cmp_class_f32_e64 vcc_lo, v8, 0x260
	v_cndmask_b32_e32 v7, v7, v8, vcc_lo
	s_delay_alu instid0(VALU_DEP_1) | instskip(SKIP_3) | instid1(VALU_DEP_2)
	v_cmp_nge_f32_e32 vcc_lo, 1.0, v7
	v_cndmask_b32_e32 v4, v10, v4, vcc_lo
	v_mul_f32_e32 v8, 0x37800000, v9
	v_cmp_class_f32_e64 vcc_lo, v6, 0x260
	v_cndmask_b32_e64 v7, v9, v8, s2
	s_delay_alu instid0(VALU_DEP_1) | instskip(NEXT) | instid1(VALU_DEP_1)
	v_dual_add_f32 v8, 1.0, v4 :: v_dual_cndmask_b32 v6, v7, v6, vcc_lo
	v_cmp_nge_f32_e32 vcc_lo, 1.0, v6
	s_delay_alu instid0(VALU_DEP_2)
	v_cndmask_b32_e32 v4, v8, v4, vcc_lo
	s_cbranch_scc1 .LBB27_333
; %bb.334:
	v_add_nc_u32_e32 v5, 0x7f056016, v3
	s_movk_i32 s5, 0x2710
	s_brev_b32 s4, 12
	s_delay_alu instid0(VALU_DEP_1) | instskip(NEXT) | instid1(VALU_DEP_1)
	v_lshrrev_b32_e32 v6, 19, v5
	v_xor3_b32 v5, v5, v6, 0xc761c23c
	s_delay_alu instid0(VALU_DEP_1) | instskip(NEXT) | instid1(VALU_DEP_1)
	v_lshl_add_u32 v5, v5, 5, v5
	v_add_nc_u32_e32 v6, 0xe9f8cc1d, v5
	v_lshl_add_u32 v5, v5, 9, 0xaccf6200
	s_delay_alu instid0(VALU_DEP_1) | instskip(NEXT) | instid1(VALU_DEP_1)
	v_xor_b32_e32 v5, v6, v5
	v_lshlrev_b32_e32 v6, 3, v5
	s_delay_alu instid0(VALU_DEP_1) | instskip(NEXT) | instid1(VALU_DEP_1)
	v_add3_u32 v5, v5, v6, 0xfd7046c5
	v_lshrrev_b32_e32 v6, 16, v5
	s_delay_alu instid0(VALU_DEP_1) | instskip(NEXT) | instid1(VALU_DEP_1)
	v_xor3_b32 v5, v5, v6, 0xb55a4f09
	v_mul_hi_u32 v6, v5, 3
	s_delay_alu instid0(VALU_DEP_1) | instskip(NEXT) | instid1(VALU_DEP_1)
	v_sub_nc_u32_e32 v7, v5, v6
	v_lshrrev_b32_e32 v7, 1, v7
	s_delay_alu instid0(VALU_DEP_1) | instskip(NEXT) | instid1(VALU_DEP_1)
	v_add_nc_u32_e32 v6, v7, v6
	v_lshrrev_b32_e32 v6, 30, v6
	s_delay_alu instid0(VALU_DEP_1) | instskip(NEXT) | instid1(VALU_DEP_1)
	v_mul_lo_u32 v6, 0x7fffffff, v6
	v_sub_nc_u32_e32 v5, v5, v6
	s_delay_alu instid0(VALU_DEP_1)
	v_max_u32_e32 v6, 1, v5
	v_mov_b32_e32 v5, 0
.LBB27_335:                             ; =>This Inner Loop Header: Depth=1
	s_delay_alu instid0(VALU_DEP_2) | instskip(NEXT) | instid1(VALU_DEP_1)
	v_mul_hi_u32 v7, 0xbc8f1391, v6
	v_dual_add_f32 v12, 1.0, v5 :: v_dual_lshrrev_b32 v7, 15, v7
	s_delay_alu instid0(VALU_DEP_1) | instskip(NEXT) | instid1(VALU_DEP_1)
	v_mul_u32_u24_e32 v8, 0xadc8, v7
	v_sub_nc_u32_e32 v6, v6, v8
	v_mul_u32_u24_e32 v7, 0xd47, v7
	s_delay_alu instid0(VALU_DEP_2) | instskip(NEXT) | instid1(VALU_DEP_2)
	v_mul_lo_u32 v6, 0xbc8f, v6
	v_xor_b32_e32 v8, 0x7fffffff, v7
	v_sub_nc_u32_e32 v9, 0, v7
	s_delay_alu instid0(VALU_DEP_3) | instskip(NEXT) | instid1(VALU_DEP_2)
	v_cmp_lt_u32_e32 vcc_lo, v6, v7
	v_cndmask_b32_e32 v7, v9, v8, vcc_lo
	s_delay_alu instid0(VALU_DEP_1) | instskip(NEXT) | instid1(VALU_DEP_1)
	v_add_nc_u32_e32 v6, v7, v6
	v_mul_hi_u32 v7, 0xbc8f1391, v6
	s_delay_alu instid0(VALU_DEP_1) | instskip(NEXT) | instid1(VALU_DEP_1)
	v_lshrrev_b32_e32 v7, 15, v7
	v_mul_u32_u24_e32 v8, 0xadc8, v7
	v_mul_u32_u24_e32 v7, 0xd47, v7
	s_delay_alu instid0(VALU_DEP_2) | instskip(NEXT) | instid1(VALU_DEP_2)
	v_sub_nc_u32_e32 v8, v6, v8
	v_xor_b32_e32 v9, 0x7fffffff, v7
	v_add_nc_u32_e32 v6, -1, v6
	s_delay_alu instid0(VALU_DEP_3) | instskip(SKIP_1) | instid1(VALU_DEP_2)
	v_mul_lo_u32 v8, 0xbc8f, v8
	v_sub_nc_u32_e32 v10, 0, v7
	v_cmp_lt_u32_e32 vcc_lo, v8, v7
	s_delay_alu instid0(VALU_DEP_2) | instskip(NEXT) | instid1(VALU_DEP_1)
	v_cndmask_b32_e32 v7, v10, v9, vcc_lo
	v_add_nc_u32_e32 v7, v7, v8
	s_delay_alu instid0(VALU_DEP_1) | instskip(NEXT) | instid1(VALU_DEP_1)
	v_mul_hi_u32 v8, 0xbc8f1391, v7
	v_lshrrev_b32_e32 v8, 15, v8
	s_delay_alu instid0(VALU_DEP_1) | instskip(SKIP_1) | instid1(VALU_DEP_2)
	v_mul_u32_u24_e32 v9, 0xadc8, v8
	v_mul_u32_u24_e32 v8, 0xd47, v8
	v_sub_nc_u32_e32 v9, v7, v9
	s_delay_alu instid0(VALU_DEP_2) | instskip(SKIP_1) | instid1(VALU_DEP_3)
	v_xor_b32_e32 v10, 0x7fffffff, v8
	v_dual_sub_nc_u32 v11, 0, v8 :: v_dual_add_nc_u32 v7, -1, v7
	v_mul_lo_u32 v9, 0xbc8f, v9
	s_delay_alu instid0(VALU_DEP_1) | instskip(NEXT) | instid1(VALU_DEP_3)
	v_cmp_lt_u32_e32 vcc_lo, v9, v8
	v_cndmask_b32_e32 v8, v11, v10, vcc_lo
	s_delay_alu instid0(VALU_DEP_1) | instskip(NEXT) | instid1(VALU_DEP_1)
	v_add_nc_u32_e32 v10, v8, v9
	v_mul_hi_u32 v8, 0xbc8f1391, v10
	s_delay_alu instid0(VALU_DEP_1) | instskip(NEXT) | instid1(VALU_DEP_1)
	v_lshrrev_b32_e32 v8, 15, v8
	v_mul_u32_u24_e32 v9, 0xadc8, v8
	s_delay_alu instid0(VALU_DEP_1) | instskip(NEXT) | instid1(VALU_DEP_1)
	v_sub_nc_u32_e32 v9, v10, v9
	v_mul_lo_u32 v11, 0xbc8f, v9
	v_mul_u32_u24_e32 v9, 0xd47, v8
	v_cvt_f32_u32_e32 v8, v6
	s_delay_alu instid0(VALU_DEP_2) | instskip(SKIP_4) | instid1(VALU_DEP_2)
	v_xor_b32_e32 v6, 0x7fffffff, v9
	v_sub_nc_u32_e32 v13, 0, v9
	v_cmp_lt_u32_e32 vcc_lo, v11, v9
	v_cvt_f32_u32_e32 v9, v7
	v_add_nc_u32_e32 v7, -1, v10
	v_pk_fma_f32 v[8:9], v[8:9], s[4:5], 0 op_sel_hi:[1,0,0]
	s_delay_alu instid0(VALU_DEP_2) | instskip(NEXT) | instid1(VALU_DEP_2)
	v_cvt_f32_u32_e32 v10, v7
	v_pk_mul_f32 v[8:9], v[8:9], v[8:9]
	s_delay_alu instid0(VALU_DEP_1) | instskip(NEXT) | instid1(VALU_DEP_1)
	v_dual_cndmask_b32 v6, v13, v6 :: v_dual_add_f32 v7, v8, v9
	v_add_nc_u32_e32 v6, v6, v11
	s_delay_alu instid0(VALU_DEP_2) | instskip(NEXT) | instid1(VALU_DEP_2)
	v_cmp_gt_f32_e32 vcc_lo, 0xf800000, v7
	v_add_nc_u32_e32 v11, -1, v6
	s_delay_alu instid0(VALU_DEP_1) | instskip(NEXT) | instid1(VALU_DEP_1)
	v_cvt_f32_u32_e32 v11, v11
	v_pk_fma_f32 v[8:9], v[10:11], s[4:5], 0 op_sel_hi:[1,0,0]
	v_mul_f32_e32 v10, 0x4f800000, v7
	s_add_co_i32 s5, s5, -2
	s_delay_alu instid0(SALU_CYCLE_1) | instskip(NEXT) | instid1(VALU_DEP_2)
	s_cmp_lg_u32 s5, 0
	v_pk_mul_f32 v[8:9], v[8:9], v[8:9]
	s_delay_alu instid0(VALU_DEP_1) | instskip(NEXT) | instid1(VALU_DEP_1)
	v_dual_add_f32 v8, v8, v9 :: v_dual_cndmask_b32 v7, v7, v10
	v_mul_f32_e32 v10, 0x4f800000, v8
	s_delay_alu instid0(VALU_DEP_2)
	v_sqrt_f32_e32 v9, v7
	v_cmp_gt_f32_e64 s2, 0xf800000, v8
	s_delay_alu instid0(TRANS32_DEP_1) | instid1(VALU_DEP_1)
	v_dual_cndmask_b32 v8, v8, v10, s2 :: v_dual_add_nc_u32 v11, -1, v9
	v_add_nc_u32_e32 v10, 1, v9
	s_delay_alu instid0(VALU_DEP_2) | instskip(NEXT) | instid1(VALU_DEP_2)
	v_sqrt_f32_e32 v14, v8
	v_fma_f32 v13, -v11, v9, v7
	s_delay_alu instid0(VALU_DEP_1) | instskip(NEXT) | instid1(VALU_DEP_1)
	v_cmp_ge_f32_e64 s3, 0, v13
	v_dual_fma_f32 v15, -v10, v9, v7 :: v_dual_cndmask_b32 v9, v9, v11, s3
	s_delay_alu instid0(VALU_DEP_1) | instskip(NEXT) | instid1(TRANS32_DEP_1)
	v_cmp_lt_f32_e64 s3, 0, v15
	v_add_nc_u32_e32 v11, -1, v14
	s_delay_alu instid0(VALU_DEP_2) | instskip(NEXT) | instid1(VALU_DEP_2)
	v_cndmask_b32_e64 v9, v9, v10, s3
	v_dual_add_nc_u32 v10, 1, v14 :: v_dual_fma_f32 v13, -v11, v14, v8
	s_delay_alu instid0(VALU_DEP_1) | instskip(NEXT) | instid1(VALU_DEP_2)
	v_fma_f32 v16, -v10, v14, v8
	v_cmp_ge_f32_e64 s3, 0, v13
	s_delay_alu instid0(VALU_DEP_1) | instskip(SKIP_1) | instid1(VALU_DEP_4)
	v_cndmask_b32_e64 v11, v14, v11, s3
	v_mul_f32_e32 v15, 0x37800000, v9
	v_cmp_lt_f32_e64 s3, 0, v16
	s_delay_alu instid0(VALU_DEP_1) | instskip(SKIP_1) | instid1(VALU_DEP_2)
	v_dual_cndmask_b32 v9, v9, v15, vcc_lo :: v_dual_cndmask_b32 v10, v11, v10, s3
	v_cmp_class_f32_e64 vcc_lo, v7, 0x260
	v_cndmask_b32_e32 v7, v9, v7, vcc_lo
	s_delay_alu instid0(VALU_DEP_3) | instskip(NEXT) | instid1(VALU_DEP_2)
	v_mul_f32_e32 v9, 0x37800000, v10
	v_cmp_nge_f32_e32 vcc_lo, 1.0, v7
	s_delay_alu instid0(VALU_DEP_2) | instskip(SKIP_2) | instid1(VALU_DEP_1)
	v_cndmask_b32_e64 v7, v10, v9, s2
	v_cndmask_b32_e32 v5, v12, v5, vcc_lo
	v_cmp_class_f32_e64 vcc_lo, v8, 0x260
	v_dual_add_f32 v9, 1.0, v5 :: v_dual_cndmask_b32 v7, v7, v8, vcc_lo
	s_delay_alu instid0(VALU_DEP_1) | instskip(NEXT) | instid1(VALU_DEP_2)
	v_cmp_nge_f32_e32 vcc_lo, 1.0, v7
	v_cndmask_b32_e32 v5, v9, v5, vcc_lo
	s_cbranch_scc1 .LBB27_335
; %bb.336:
	v_add_nc_u32_e32 v6, 0x7f156116, v3
	s_movk_i32 s5, 0x2710
	s_brev_b32 s4, 12
	s_delay_alu instid0(VALU_DEP_1) | instskip(NEXT) | instid1(VALU_DEP_1)
	v_lshrrev_b32_e32 v7, 19, v6
	v_xor3_b32 v6, v6, v7, 0xc761c23c
	s_delay_alu instid0(VALU_DEP_1) | instskip(NEXT) | instid1(VALU_DEP_1)
	v_lshl_add_u32 v6, v6, 5, v6
	v_add_nc_u32_e32 v7, 0xe9f8cc1d, v6
	v_lshl_add_u32 v6, v6, 9, 0xaccf6200
	s_delay_alu instid0(VALU_DEP_1) | instskip(NEXT) | instid1(VALU_DEP_1)
	v_xor_b32_e32 v6, v7, v6
	v_lshlrev_b32_e32 v7, 3, v6
	s_delay_alu instid0(VALU_DEP_1) | instskip(NEXT) | instid1(VALU_DEP_1)
	v_add3_u32 v6, v6, v7, 0xfd7046c5
	v_lshrrev_b32_e32 v7, 16, v6
	s_delay_alu instid0(VALU_DEP_1) | instskip(NEXT) | instid1(VALU_DEP_1)
	v_xor3_b32 v6, v6, v7, 0xb55a4f09
	v_mul_hi_u32 v7, v6, 3
	s_delay_alu instid0(VALU_DEP_1) | instskip(NEXT) | instid1(VALU_DEP_1)
	v_sub_nc_u32_e32 v8, v6, v7
	v_lshrrev_b32_e32 v8, 1, v8
	s_delay_alu instid0(VALU_DEP_1) | instskip(NEXT) | instid1(VALU_DEP_1)
	v_add_nc_u32_e32 v7, v8, v7
	v_lshrrev_b32_e32 v7, 30, v7
	s_delay_alu instid0(VALU_DEP_1) | instskip(NEXT) | instid1(VALU_DEP_1)
	v_mul_lo_u32 v7, 0x7fffffff, v7
	v_sub_nc_u32_e32 v6, v6, v7
	s_delay_alu instid0(VALU_DEP_1)
	v_max_u32_e32 v7, 1, v6
	v_mov_b32_e32 v6, 0
.LBB27_337:                             ; =>This Inner Loop Header: Depth=1
	s_delay_alu instid0(VALU_DEP_2) | instskip(NEXT) | instid1(VALU_DEP_1)
	v_mul_hi_u32 v8, 0xbc8f1391, v7
	v_lshrrev_b32_e32 v8, 15, v8
	s_delay_alu instid0(VALU_DEP_1) | instskip(NEXT) | instid1(VALU_DEP_1)
	v_mul_u32_u24_e32 v9, 0xadc8, v8
	v_sub_nc_u32_e32 v7, v7, v9
	v_mul_u32_u24_e32 v8, 0xd47, v8
	s_delay_alu instid0(VALU_DEP_2) | instskip(NEXT) | instid1(VALU_DEP_2)
	v_mul_lo_u32 v7, 0xbc8f, v7
	v_xor_b32_e32 v9, 0x7fffffff, v8
	v_sub_nc_u32_e32 v10, 0, v8
	s_delay_alu instid0(VALU_DEP_3) | instskip(NEXT) | instid1(VALU_DEP_2)
	v_cmp_lt_u32_e32 vcc_lo, v7, v8
	v_cndmask_b32_e32 v8, v10, v9, vcc_lo
	s_delay_alu instid0(VALU_DEP_1) | instskip(NEXT) | instid1(VALU_DEP_1)
	v_add_nc_u32_e32 v7, v8, v7
	v_mul_hi_u32 v8, 0xbc8f1391, v7
	s_delay_alu instid0(VALU_DEP_1) | instskip(NEXT) | instid1(VALU_DEP_1)
	v_lshrrev_b32_e32 v8, 15, v8
	v_mul_u32_u24_e32 v9, 0xadc8, v8
	v_mul_u32_u24_e32 v8, 0xd47, v8
	s_delay_alu instid0(VALU_DEP_2) | instskip(NEXT) | instid1(VALU_DEP_2)
	v_sub_nc_u32_e32 v9, v7, v9
	v_xor_b32_e32 v10, 0x7fffffff, v8
	v_add_nc_u32_e32 v7, -1, v7
	s_delay_alu instid0(VALU_DEP_3) | instskip(SKIP_1) | instid1(VALU_DEP_2)
	v_mul_lo_u32 v9, 0xbc8f, v9
	v_sub_nc_u32_e32 v11, 0, v8
	v_cmp_lt_u32_e32 vcc_lo, v9, v8
	s_delay_alu instid0(VALU_DEP_2) | instskip(NEXT) | instid1(VALU_DEP_1)
	v_cndmask_b32_e32 v8, v11, v10, vcc_lo
	v_add_nc_u32_e32 v9, v8, v9
	s_delay_alu instid0(VALU_DEP_1) | instskip(NEXT) | instid1(VALU_DEP_1)
	v_mul_hi_u32 v8, 0xbc8f1391, v9
	v_lshrrev_b32_e32 v8, 15, v8
	s_delay_alu instid0(VALU_DEP_1) | instskip(SKIP_1) | instid1(VALU_DEP_2)
	v_mul_u32_u24_e32 v10, 0xadc8, v8
	v_mul_u32_u24_e32 v8, 0xd47, v8
	v_sub_nc_u32_e32 v10, v9, v10
	s_delay_alu instid0(VALU_DEP_2) | instskip(NEXT) | instid1(VALU_DEP_2)
	v_xor_b32_e32 v11, 0x7fffffff, v8
	v_mul_lo_u32 v10, 0xbc8f, v10
	v_sub_nc_u32_e32 v12, 0, v8
	s_delay_alu instid0(VALU_DEP_2) | instskip(NEXT) | instid1(VALU_DEP_2)
	v_cmp_lt_u32_e32 vcc_lo, v10, v8
	v_dual_cndmask_b32 v8, v12, v11, vcc_lo :: v_dual_add_f32 v12, 1.0, v6
	s_delay_alu instid0(VALU_DEP_1) | instskip(NEXT) | instid1(VALU_DEP_1)
	v_add_nc_u32_e32 v10, v8, v10
	v_mul_hi_u32 v8, 0xbc8f1391, v10
	s_delay_alu instid0(VALU_DEP_1) | instskip(NEXT) | instid1(VALU_DEP_1)
	v_lshrrev_b32_e32 v8, 15, v8
	v_mul_u32_u24_e32 v11, 0xadc8, v8
	v_mul_u32_u24_e32 v13, 0xd47, v8
	v_cvt_f32_u32_e32 v8, v7
	s_delay_alu instid0(VALU_DEP_3) | instskip(NEXT) | instid1(VALU_DEP_3)
	v_sub_nc_u32_e32 v11, v10, v11
	v_xor_b32_e32 v7, 0x7fffffff, v13
	v_dual_sub_nc_u32 v14, 0, v13 :: v_dual_add_nc_u32 v10, -1, v10
	s_delay_alu instid0(VALU_DEP_3) | instskip(NEXT) | instid1(VALU_DEP_2)
	v_mul_lo_u32 v11, 0xbc8f, v11
	v_cvt_f32_u32_e32 v10, v10
	s_delay_alu instid0(VALU_DEP_2) | instskip(NEXT) | instid1(VALU_DEP_4)
	v_cmp_lt_u32_e32 vcc_lo, v11, v13
	v_dual_add_nc_u32 v9, -1, v9 :: v_dual_cndmask_b32 v7, v14, v7, vcc_lo
	s_delay_alu instid0(VALU_DEP_1) | instskip(NEXT) | instid1(VALU_DEP_2)
	v_cvt_f32_u32_e32 v9, v9
	v_add_nc_u32_e32 v7, v7, v11
	s_delay_alu instid0(VALU_DEP_2) | instskip(NEXT) | instid1(VALU_DEP_1)
	v_pk_fma_f32 v[8:9], v[8:9], s[4:5], 0 op_sel_hi:[1,0,0]
	v_pk_mul_f32 v[8:9], v[8:9], v[8:9]
	s_delay_alu instid0(VALU_DEP_1) | instskip(NEXT) | instid1(VALU_DEP_1)
	v_dual_add_nc_u32 v11, -1, v7 :: v_dual_add_f32 v13, v8, v9
	v_cvt_f32_u32_e32 v11, v11
	s_delay_alu instid0(VALU_DEP_2) | instskip(NEXT) | instid1(VALU_DEP_2)
	v_cmp_gt_f32_e32 vcc_lo, 0xf800000, v13
	v_pk_fma_f32 v[8:9], v[10:11], s[4:5], 0 op_sel_hi:[1,0,0]
	s_add_co_i32 s5, s5, -2
	s_delay_alu instid0(SALU_CYCLE_1) | instskip(NEXT) | instid1(VALU_DEP_1)
	s_cmp_lg_u32 s5, 0
	v_pk_mul_f32 v[8:9], v[8:9], v[8:9]
	s_delay_alu instid0(VALU_DEP_1) | instskip(NEXT) | instid1(VALU_DEP_1)
	v_add_f32_e32 v8, v8, v9
	v_dual_mul_f32 v10, 0x4f800000, v13 :: v_dual_mul_f32 v11, 0x4f800000, v8
	s_delay_alu instid0(VALU_DEP_1) | instskip(SKIP_1) | instid1(VALU_DEP_2)
	v_cndmask_b32_e32 v10, v13, v10, vcc_lo
	v_cmp_gt_f32_e64 s2, 0xf800000, v8
	v_sqrt_f32_e32 v9, v10
	v_nop
	s_delay_alu instid0(TRANS32_DEP_1) | instskip(NEXT) | instid1(VALU_DEP_1)
	v_dual_add_nc_u32 v13, -1, v9 :: v_dual_cndmask_b32 v8, v8, v11, s2
	v_dual_add_nc_u32 v11, 1, v9 :: v_dual_fma_f32 v14, -v13, v9, v10
	s_delay_alu instid0(VALU_DEP_2) | instskip(NEXT) | instid1(VALU_DEP_1)
	v_sqrt_f32_e32 v15, v8
	v_fma_f32 v16, -v11, v9, v10
	s_delay_alu instid0(VALU_DEP_2)
	v_cmp_ge_f32_e64 s3, 0, v14
	s_delay_alu instid0(TRANS32_DEP_1) | instid1(VALU_DEP_1)
	v_dual_cndmask_b32 v9, v9, v13, s3 :: v_dual_add_nc_u32 v13, -1, v15
	s_delay_alu instid0(VALU_DEP_3) | instskip(NEXT) | instid1(VALU_DEP_1)
	v_cmp_lt_f32_e64 s3, 0, v16
	v_cndmask_b32_e64 v9, v9, v11, s3
	s_delay_alu instid0(VALU_DEP_3) | instskip(NEXT) | instid1(VALU_DEP_1)
	v_dual_add_nc_u32 v11, 1, v15 :: v_dual_fma_f32 v14, -v13, v15, v8
	v_fma_f32 v17, -v11, v15, v8
	s_delay_alu instid0(VALU_DEP_2) | instskip(NEXT) | instid1(VALU_DEP_1)
	v_cmp_ge_f32_e64 s3, 0, v14
	v_cndmask_b32_e64 v13, v15, v13, s3
	v_mul_f32_e32 v16, 0x37800000, v9
	s_delay_alu instid0(VALU_DEP_4) | instskip(NEXT) | instid1(VALU_DEP_1)
	v_cmp_lt_f32_e64 s3, 0, v17
	v_cndmask_b32_e64 v11, v13, v11, s3
	s_delay_alu instid0(VALU_DEP_3) | instskip(SKIP_1) | instid1(VALU_DEP_2)
	v_cndmask_b32_e32 v9, v9, v16, vcc_lo
	v_cmp_class_f32_e64 vcc_lo, v10, 0x260
	v_cndmask_b32_e32 v9, v9, v10, vcc_lo
	s_delay_alu instid0(VALU_DEP_1) | instskip(SKIP_3) | instid1(VALU_DEP_2)
	v_cmp_nge_f32_e32 vcc_lo, 1.0, v9
	v_cndmask_b32_e32 v6, v12, v6, vcc_lo
	v_mul_f32_e32 v10, 0x37800000, v11
	v_cmp_class_f32_e64 vcc_lo, v8, 0x260
	v_cndmask_b32_e64 v9, v11, v10, s2
	s_delay_alu instid0(VALU_DEP_1) | instskip(NEXT) | instid1(VALU_DEP_1)
	v_dual_add_f32 v10, 1.0, v6 :: v_dual_cndmask_b32 v8, v9, v8, vcc_lo
	v_cmp_nge_f32_e32 vcc_lo, 1.0, v8
	s_delay_alu instid0(VALU_DEP_2)
	v_cndmask_b32_e32 v6, v10, v6, vcc_lo
	s_cbranch_scc1 .LBB27_337
; %bb.338:
	v_add_nc_u32_e32 v7, 0x7f256216, v3
	s_movk_i32 s5, 0x2710
	s_brev_b32 s4, 12
	s_delay_alu instid0(VALU_DEP_1) | instskip(NEXT) | instid1(VALU_DEP_1)
	v_lshrrev_b32_e32 v8, 19, v7
	v_xor3_b32 v7, v7, v8, 0xc761c23c
	s_delay_alu instid0(VALU_DEP_1) | instskip(NEXT) | instid1(VALU_DEP_1)
	v_lshl_add_u32 v7, v7, 5, v7
	v_add_nc_u32_e32 v8, 0xe9f8cc1d, v7
	v_lshl_add_u32 v7, v7, 9, 0xaccf6200
	s_delay_alu instid0(VALU_DEP_1) | instskip(NEXT) | instid1(VALU_DEP_1)
	v_xor_b32_e32 v7, v8, v7
	v_lshlrev_b32_e32 v8, 3, v7
	s_delay_alu instid0(VALU_DEP_1) | instskip(NEXT) | instid1(VALU_DEP_1)
	v_add3_u32 v7, v7, v8, 0xfd7046c5
	v_lshrrev_b32_e32 v8, 16, v7
	s_delay_alu instid0(VALU_DEP_1) | instskip(NEXT) | instid1(VALU_DEP_1)
	v_xor3_b32 v7, v7, v8, 0xb55a4f09
	v_mul_hi_u32 v8, v7, 3
	s_delay_alu instid0(VALU_DEP_1) | instskip(NEXT) | instid1(VALU_DEP_1)
	v_sub_nc_u32_e32 v9, v7, v8
	v_lshrrev_b32_e32 v9, 1, v9
	s_delay_alu instid0(VALU_DEP_1) | instskip(NEXT) | instid1(VALU_DEP_1)
	v_add_nc_u32_e32 v8, v9, v8
	v_lshrrev_b32_e32 v8, 30, v8
	s_delay_alu instid0(VALU_DEP_1) | instskip(NEXT) | instid1(VALU_DEP_1)
	v_mul_lo_u32 v8, 0x7fffffff, v8
	v_sub_nc_u32_e32 v7, v7, v8
	s_delay_alu instid0(VALU_DEP_1)
	v_max_u32_e32 v8, 1, v7
	v_mov_b32_e32 v7, 0
.LBB27_339:                             ; =>This Inner Loop Header: Depth=1
	s_delay_alu instid0(VALU_DEP_2) | instskip(NEXT) | instid1(VALU_DEP_1)
	v_mul_hi_u32 v9, 0xbc8f1391, v8
	v_dual_add_f32 v14, 1.0, v7 :: v_dual_lshrrev_b32 v9, 15, v9
	s_delay_alu instid0(VALU_DEP_1) | instskip(NEXT) | instid1(VALU_DEP_1)
	v_mul_u32_u24_e32 v10, 0xadc8, v9
	v_sub_nc_u32_e32 v8, v8, v10
	v_mul_u32_u24_e32 v9, 0xd47, v9
	s_delay_alu instid0(VALU_DEP_2) | instskip(NEXT) | instid1(VALU_DEP_2)
	v_mul_lo_u32 v8, 0xbc8f, v8
	v_xor_b32_e32 v10, 0x7fffffff, v9
	v_sub_nc_u32_e32 v11, 0, v9
	s_delay_alu instid0(VALU_DEP_3) | instskip(NEXT) | instid1(VALU_DEP_2)
	v_cmp_lt_u32_e32 vcc_lo, v8, v9
	v_cndmask_b32_e32 v9, v11, v10, vcc_lo
	s_delay_alu instid0(VALU_DEP_1) | instskip(NEXT) | instid1(VALU_DEP_1)
	v_add_nc_u32_e32 v8, v9, v8
	v_mul_hi_u32 v9, 0xbc8f1391, v8
	s_delay_alu instid0(VALU_DEP_1) | instskip(NEXT) | instid1(VALU_DEP_1)
	v_lshrrev_b32_e32 v9, 15, v9
	v_mul_u32_u24_e32 v10, 0xadc8, v9
	v_mul_u32_u24_e32 v9, 0xd47, v9
	s_delay_alu instid0(VALU_DEP_2) | instskip(NEXT) | instid1(VALU_DEP_2)
	v_sub_nc_u32_e32 v10, v8, v10
	v_xor_b32_e32 v11, 0x7fffffff, v9
	v_add_nc_u32_e32 v8, -1, v8
	s_delay_alu instid0(VALU_DEP_3) | instskip(SKIP_1) | instid1(VALU_DEP_2)
	v_mul_lo_u32 v10, 0xbc8f, v10
	v_sub_nc_u32_e32 v12, 0, v9
	v_cmp_lt_u32_e32 vcc_lo, v10, v9
	s_delay_alu instid0(VALU_DEP_2) | instskip(NEXT) | instid1(VALU_DEP_1)
	v_cndmask_b32_e32 v9, v12, v11, vcc_lo
	v_add_nc_u32_e32 v9, v9, v10
	s_delay_alu instid0(VALU_DEP_1) | instskip(NEXT) | instid1(VALU_DEP_1)
	v_mul_hi_u32 v10, 0xbc8f1391, v9
	v_lshrrev_b32_e32 v10, 15, v10
	s_delay_alu instid0(VALU_DEP_1) | instskip(SKIP_1) | instid1(VALU_DEP_2)
	v_mul_u32_u24_e32 v11, 0xadc8, v10
	v_mul_u32_u24_e32 v10, 0xd47, v10
	v_sub_nc_u32_e32 v11, v9, v11
	s_delay_alu instid0(VALU_DEP_2) | instskip(SKIP_1) | instid1(VALU_DEP_3)
	v_xor_b32_e32 v12, 0x7fffffff, v10
	v_dual_sub_nc_u32 v13, 0, v10 :: v_dual_add_nc_u32 v9, -1, v9
	v_mul_lo_u32 v11, 0xbc8f, v11
	s_delay_alu instid0(VALU_DEP_1) | instskip(NEXT) | instid1(VALU_DEP_3)
	v_cmp_lt_u32_e32 vcc_lo, v11, v10
	v_cndmask_b32_e32 v10, v13, v12, vcc_lo
	s_delay_alu instid0(VALU_DEP_1) | instskip(NEXT) | instid1(VALU_DEP_1)
	v_add_nc_u32_e32 v12, v10, v11
	v_mul_hi_u32 v10, 0xbc8f1391, v12
	s_delay_alu instid0(VALU_DEP_1) | instskip(NEXT) | instid1(VALU_DEP_1)
	v_lshrrev_b32_e32 v10, 15, v10
	v_mul_u32_u24_e32 v11, 0xadc8, v10
	s_delay_alu instid0(VALU_DEP_1) | instskip(NEXT) | instid1(VALU_DEP_1)
	v_sub_nc_u32_e32 v11, v12, v11
	v_mul_lo_u32 v13, 0xbc8f, v11
	v_mul_u32_u24_e32 v11, 0xd47, v10
	v_cvt_f32_u32_e32 v10, v8
	s_delay_alu instid0(VALU_DEP_2) | instskip(SKIP_4) | instid1(VALU_DEP_2)
	v_xor_b32_e32 v8, 0x7fffffff, v11
	v_sub_nc_u32_e32 v15, 0, v11
	v_cmp_lt_u32_e32 vcc_lo, v13, v11
	v_cvt_f32_u32_e32 v11, v9
	v_add_nc_u32_e32 v9, -1, v12
	v_pk_fma_f32 v[10:11], v[10:11], s[4:5], 0 op_sel_hi:[1,0,0]
	s_delay_alu instid0(VALU_DEP_2) | instskip(NEXT) | instid1(VALU_DEP_2)
	v_cvt_f32_u32_e32 v12, v9
	v_pk_mul_f32 v[10:11], v[10:11], v[10:11]
	s_delay_alu instid0(VALU_DEP_1) | instskip(NEXT) | instid1(VALU_DEP_1)
	v_dual_cndmask_b32 v8, v15, v8 :: v_dual_add_f32 v9, v10, v11
	v_add_nc_u32_e32 v8, v8, v13
	s_delay_alu instid0(VALU_DEP_2) | instskip(NEXT) | instid1(VALU_DEP_2)
	v_cmp_gt_f32_e32 vcc_lo, 0xf800000, v9
	v_add_nc_u32_e32 v13, -1, v8
	s_delay_alu instid0(VALU_DEP_1) | instskip(NEXT) | instid1(VALU_DEP_1)
	v_cvt_f32_u32_e32 v13, v13
	v_pk_fma_f32 v[10:11], v[12:13], s[4:5], 0 op_sel_hi:[1,0,0]
	v_mul_f32_e32 v12, 0x4f800000, v9
	s_add_co_i32 s5, s5, -2
	s_delay_alu instid0(SALU_CYCLE_1) | instskip(NEXT) | instid1(VALU_DEP_2)
	s_cmp_lg_u32 s5, 0
	v_pk_mul_f32 v[10:11], v[10:11], v[10:11]
	s_delay_alu instid0(VALU_DEP_1) | instskip(NEXT) | instid1(VALU_DEP_1)
	v_dual_add_f32 v10, v10, v11 :: v_dual_cndmask_b32 v9, v9, v12
	v_mul_f32_e32 v12, 0x4f800000, v10
	s_delay_alu instid0(VALU_DEP_2)
	v_sqrt_f32_e32 v11, v9
	v_cmp_gt_f32_e64 s2, 0xf800000, v10
	s_delay_alu instid0(TRANS32_DEP_1) | instid1(VALU_DEP_1)
	v_dual_cndmask_b32 v10, v10, v12, s2 :: v_dual_add_nc_u32 v13, -1, v11
	v_add_nc_u32_e32 v12, 1, v11
	s_delay_alu instid0(VALU_DEP_2) | instskip(NEXT) | instid1(VALU_DEP_2)
	v_sqrt_f32_e32 v16, v10
	v_fma_f32 v15, -v13, v11, v9
	s_delay_alu instid0(VALU_DEP_1) | instskip(NEXT) | instid1(VALU_DEP_1)
	v_cmp_ge_f32_e64 s3, 0, v15
	v_dual_fma_f32 v17, -v12, v11, v9 :: v_dual_cndmask_b32 v11, v11, v13, s3
	s_delay_alu instid0(VALU_DEP_1) | instskip(NEXT) | instid1(TRANS32_DEP_1)
	v_cmp_lt_f32_e64 s3, 0, v17
	v_add_nc_u32_e32 v13, -1, v16
	s_delay_alu instid0(VALU_DEP_2) | instskip(NEXT) | instid1(VALU_DEP_2)
	v_cndmask_b32_e64 v11, v11, v12, s3
	v_dual_add_nc_u32 v12, 1, v16 :: v_dual_fma_f32 v15, -v13, v16, v10
	s_delay_alu instid0(VALU_DEP_1) | instskip(NEXT) | instid1(VALU_DEP_2)
	v_fma_f32 v18, -v12, v16, v10
	v_cmp_ge_f32_e64 s3, 0, v15
	s_delay_alu instid0(VALU_DEP_1) | instskip(SKIP_1) | instid1(VALU_DEP_4)
	v_cndmask_b32_e64 v13, v16, v13, s3
	v_mul_f32_e32 v17, 0x37800000, v11
	v_cmp_lt_f32_e64 s3, 0, v18
	s_delay_alu instid0(VALU_DEP_1) | instskip(SKIP_1) | instid1(VALU_DEP_2)
	v_dual_cndmask_b32 v11, v11, v17, vcc_lo :: v_dual_cndmask_b32 v12, v13, v12, s3
	v_cmp_class_f32_e64 vcc_lo, v9, 0x260
	v_cndmask_b32_e32 v9, v11, v9, vcc_lo
	s_delay_alu instid0(VALU_DEP_3) | instskip(NEXT) | instid1(VALU_DEP_2)
	v_mul_f32_e32 v11, 0x37800000, v12
	v_cmp_nge_f32_e32 vcc_lo, 1.0, v9
	s_delay_alu instid0(VALU_DEP_2) | instskip(SKIP_2) | instid1(VALU_DEP_1)
	v_cndmask_b32_e64 v9, v12, v11, s2
	v_cndmask_b32_e32 v7, v14, v7, vcc_lo
	v_cmp_class_f32_e64 vcc_lo, v10, 0x260
	v_dual_add_f32 v11, 1.0, v7 :: v_dual_cndmask_b32 v9, v9, v10, vcc_lo
	s_delay_alu instid0(VALU_DEP_1) | instskip(NEXT) | instid1(VALU_DEP_2)
	v_cmp_nge_f32_e32 vcc_lo, 1.0, v9
	v_cndmask_b32_e32 v7, v11, v7, vcc_lo
	s_cbranch_scc1 .LBB27_339
; %bb.340:
	v_add_nc_u32_e32 v8, 0x7f356316, v3
	s_movk_i32 s5, 0x2710
	s_brev_b32 s4, 12
	s_delay_alu instid0(VALU_DEP_1) | instskip(NEXT) | instid1(VALU_DEP_1)
	v_lshrrev_b32_e32 v9, 19, v8
	v_xor3_b32 v8, v8, v9, 0xc761c23c
	s_delay_alu instid0(VALU_DEP_1) | instskip(NEXT) | instid1(VALU_DEP_1)
	v_lshl_add_u32 v8, v8, 5, v8
	v_add_nc_u32_e32 v9, 0xe9f8cc1d, v8
	v_lshl_add_u32 v8, v8, 9, 0xaccf6200
	s_delay_alu instid0(VALU_DEP_1) | instskip(NEXT) | instid1(VALU_DEP_1)
	v_xor_b32_e32 v8, v9, v8
	v_lshlrev_b32_e32 v9, 3, v8
	s_delay_alu instid0(VALU_DEP_1) | instskip(NEXT) | instid1(VALU_DEP_1)
	v_add3_u32 v8, v8, v9, 0xfd7046c5
	v_lshrrev_b32_e32 v9, 16, v8
	s_delay_alu instid0(VALU_DEP_1) | instskip(NEXT) | instid1(VALU_DEP_1)
	v_xor3_b32 v8, v8, v9, 0xb55a4f09
	v_mul_hi_u32 v9, v8, 3
	s_delay_alu instid0(VALU_DEP_1) | instskip(NEXT) | instid1(VALU_DEP_1)
	v_sub_nc_u32_e32 v10, v8, v9
	v_lshrrev_b32_e32 v10, 1, v10
	s_delay_alu instid0(VALU_DEP_1) | instskip(NEXT) | instid1(VALU_DEP_1)
	v_add_nc_u32_e32 v9, v10, v9
	v_lshrrev_b32_e32 v9, 30, v9
	s_delay_alu instid0(VALU_DEP_1) | instskip(NEXT) | instid1(VALU_DEP_1)
	v_mul_lo_u32 v9, 0x7fffffff, v9
	v_sub_nc_u32_e32 v8, v8, v9
	s_delay_alu instid0(VALU_DEP_1)
	v_max_u32_e32 v9, 1, v8
	v_mov_b32_e32 v8, 0
.LBB27_341:                             ; =>This Inner Loop Header: Depth=1
	s_delay_alu instid0(VALU_DEP_2) | instskip(NEXT) | instid1(VALU_DEP_1)
	v_mul_hi_u32 v10, 0xbc8f1391, v9
	v_lshrrev_b32_e32 v10, 15, v10
	s_delay_alu instid0(VALU_DEP_1) | instskip(NEXT) | instid1(VALU_DEP_1)
	v_mul_u32_u24_e32 v11, 0xadc8, v10
	v_sub_nc_u32_e32 v9, v9, v11
	v_mul_u32_u24_e32 v10, 0xd47, v10
	s_delay_alu instid0(VALU_DEP_2) | instskip(NEXT) | instid1(VALU_DEP_2)
	v_mul_lo_u32 v9, 0xbc8f, v9
	v_xor_b32_e32 v11, 0x7fffffff, v10
	v_sub_nc_u32_e32 v12, 0, v10
	s_delay_alu instid0(VALU_DEP_3) | instskip(NEXT) | instid1(VALU_DEP_2)
	v_cmp_lt_u32_e32 vcc_lo, v9, v10
	v_cndmask_b32_e32 v10, v12, v11, vcc_lo
	s_delay_alu instid0(VALU_DEP_1) | instskip(NEXT) | instid1(VALU_DEP_1)
	v_add_nc_u32_e32 v9, v10, v9
	v_mul_hi_u32 v10, 0xbc8f1391, v9
	s_delay_alu instid0(VALU_DEP_1) | instskip(NEXT) | instid1(VALU_DEP_1)
	v_lshrrev_b32_e32 v10, 15, v10
	v_mul_u32_u24_e32 v11, 0xadc8, v10
	v_mul_u32_u24_e32 v10, 0xd47, v10
	s_delay_alu instid0(VALU_DEP_2) | instskip(NEXT) | instid1(VALU_DEP_2)
	v_sub_nc_u32_e32 v11, v9, v11
	v_xor_b32_e32 v12, 0x7fffffff, v10
	v_add_nc_u32_e32 v9, -1, v9
	s_delay_alu instid0(VALU_DEP_3) | instskip(SKIP_1) | instid1(VALU_DEP_2)
	v_mul_lo_u32 v11, 0xbc8f, v11
	v_sub_nc_u32_e32 v13, 0, v10
	v_cmp_lt_u32_e32 vcc_lo, v11, v10
	s_delay_alu instid0(VALU_DEP_2) | instskip(NEXT) | instid1(VALU_DEP_1)
	v_cndmask_b32_e32 v10, v13, v12, vcc_lo
	v_add_nc_u32_e32 v11, v10, v11
	s_delay_alu instid0(VALU_DEP_1) | instskip(NEXT) | instid1(VALU_DEP_1)
	v_mul_hi_u32 v10, 0xbc8f1391, v11
	v_lshrrev_b32_e32 v10, 15, v10
	s_delay_alu instid0(VALU_DEP_1) | instskip(SKIP_1) | instid1(VALU_DEP_2)
	v_mul_u32_u24_e32 v12, 0xadc8, v10
	v_mul_u32_u24_e32 v10, 0xd47, v10
	v_sub_nc_u32_e32 v12, v11, v12
	s_delay_alu instid0(VALU_DEP_2) | instskip(NEXT) | instid1(VALU_DEP_2)
	v_xor_b32_e32 v13, 0x7fffffff, v10
	v_mul_lo_u32 v12, 0xbc8f, v12
	v_sub_nc_u32_e32 v14, 0, v10
	s_delay_alu instid0(VALU_DEP_2) | instskip(NEXT) | instid1(VALU_DEP_2)
	v_cmp_lt_u32_e32 vcc_lo, v12, v10
	v_dual_cndmask_b32 v10, v14, v13, vcc_lo :: v_dual_add_f32 v14, 1.0, v8
	s_delay_alu instid0(VALU_DEP_1) | instskip(NEXT) | instid1(VALU_DEP_1)
	v_add_nc_u32_e32 v12, v10, v12
	v_mul_hi_u32 v10, 0xbc8f1391, v12
	s_delay_alu instid0(VALU_DEP_1) | instskip(NEXT) | instid1(VALU_DEP_1)
	v_lshrrev_b32_e32 v10, 15, v10
	v_mul_u32_u24_e32 v13, 0xadc8, v10
	v_mul_u32_u24_e32 v15, 0xd47, v10
	v_cvt_f32_u32_e32 v10, v9
	s_delay_alu instid0(VALU_DEP_3) | instskip(NEXT) | instid1(VALU_DEP_3)
	v_sub_nc_u32_e32 v13, v12, v13
	v_xor_b32_e32 v9, 0x7fffffff, v15
	v_dual_sub_nc_u32 v16, 0, v15 :: v_dual_add_nc_u32 v12, -1, v12
	s_delay_alu instid0(VALU_DEP_3) | instskip(NEXT) | instid1(VALU_DEP_2)
	v_mul_lo_u32 v13, 0xbc8f, v13
	v_cvt_f32_u32_e32 v12, v12
	s_delay_alu instid0(VALU_DEP_2) | instskip(NEXT) | instid1(VALU_DEP_4)
	v_cmp_lt_u32_e32 vcc_lo, v13, v15
	v_dual_add_nc_u32 v11, -1, v11 :: v_dual_cndmask_b32 v9, v16, v9, vcc_lo
	s_delay_alu instid0(VALU_DEP_1) | instskip(NEXT) | instid1(VALU_DEP_2)
	v_cvt_f32_u32_e32 v11, v11
	v_add_nc_u32_e32 v9, v9, v13
	s_delay_alu instid0(VALU_DEP_2) | instskip(NEXT) | instid1(VALU_DEP_1)
	v_pk_fma_f32 v[10:11], v[10:11], s[4:5], 0 op_sel_hi:[1,0,0]
	v_pk_mul_f32 v[10:11], v[10:11], v[10:11]
	s_delay_alu instid0(VALU_DEP_1) | instskip(NEXT) | instid1(VALU_DEP_1)
	v_dual_add_nc_u32 v13, -1, v9 :: v_dual_add_f32 v15, v10, v11
	v_cvt_f32_u32_e32 v13, v13
	s_delay_alu instid0(VALU_DEP_2) | instskip(NEXT) | instid1(VALU_DEP_2)
	v_cmp_gt_f32_e32 vcc_lo, 0xf800000, v15
	v_pk_fma_f32 v[10:11], v[12:13], s[4:5], 0 op_sel_hi:[1,0,0]
	s_add_co_i32 s5, s5, -2
	s_delay_alu instid0(SALU_CYCLE_1) | instskip(NEXT) | instid1(VALU_DEP_1)
	s_cmp_lg_u32 s5, 0
	v_pk_mul_f32 v[10:11], v[10:11], v[10:11]
	s_delay_alu instid0(VALU_DEP_1) | instskip(NEXT) | instid1(VALU_DEP_1)
	v_add_f32_e32 v10, v10, v11
	v_dual_mul_f32 v12, 0x4f800000, v15 :: v_dual_mul_f32 v13, 0x4f800000, v10
	s_delay_alu instid0(VALU_DEP_1) | instskip(SKIP_1) | instid1(VALU_DEP_2)
	v_cndmask_b32_e32 v12, v15, v12, vcc_lo
	v_cmp_gt_f32_e64 s2, 0xf800000, v10
	v_sqrt_f32_e32 v11, v12
	v_nop
	s_delay_alu instid0(TRANS32_DEP_1) | instskip(NEXT) | instid1(VALU_DEP_1)
	v_dual_add_nc_u32 v15, -1, v11 :: v_dual_cndmask_b32 v10, v10, v13, s2
	v_dual_add_nc_u32 v13, 1, v11 :: v_dual_fma_f32 v16, -v15, v11, v12
	s_delay_alu instid0(VALU_DEP_2) | instskip(NEXT) | instid1(VALU_DEP_1)
	v_sqrt_f32_e32 v17, v10
	v_fma_f32 v18, -v13, v11, v12
	s_delay_alu instid0(VALU_DEP_2)
	v_cmp_ge_f32_e64 s3, 0, v16
	s_delay_alu instid0(TRANS32_DEP_1) | instid1(VALU_DEP_1)
	v_dual_cndmask_b32 v11, v11, v15, s3 :: v_dual_add_nc_u32 v15, -1, v17
	s_delay_alu instid0(VALU_DEP_3) | instskip(NEXT) | instid1(VALU_DEP_1)
	v_cmp_lt_f32_e64 s3, 0, v18
	v_cndmask_b32_e64 v11, v11, v13, s3
	s_delay_alu instid0(VALU_DEP_3) | instskip(NEXT) | instid1(VALU_DEP_1)
	v_dual_add_nc_u32 v13, 1, v17 :: v_dual_fma_f32 v16, -v15, v17, v10
	v_fma_f32 v19, -v13, v17, v10
	s_delay_alu instid0(VALU_DEP_2) | instskip(NEXT) | instid1(VALU_DEP_1)
	v_cmp_ge_f32_e64 s3, 0, v16
	v_cndmask_b32_e64 v15, v17, v15, s3
	v_mul_f32_e32 v18, 0x37800000, v11
	s_delay_alu instid0(VALU_DEP_4) | instskip(NEXT) | instid1(VALU_DEP_1)
	v_cmp_lt_f32_e64 s3, 0, v19
	v_cndmask_b32_e64 v13, v15, v13, s3
	s_delay_alu instid0(VALU_DEP_3) | instskip(SKIP_1) | instid1(VALU_DEP_2)
	v_cndmask_b32_e32 v11, v11, v18, vcc_lo
	v_cmp_class_f32_e64 vcc_lo, v12, 0x260
	v_cndmask_b32_e32 v11, v11, v12, vcc_lo
	s_delay_alu instid0(VALU_DEP_1) | instskip(SKIP_3) | instid1(VALU_DEP_2)
	v_cmp_nge_f32_e32 vcc_lo, 1.0, v11
	v_cndmask_b32_e32 v8, v14, v8, vcc_lo
	v_mul_f32_e32 v12, 0x37800000, v13
	v_cmp_class_f32_e64 vcc_lo, v10, 0x260
	v_cndmask_b32_e64 v11, v13, v12, s2
	s_delay_alu instid0(VALU_DEP_1) | instskip(NEXT) | instid1(VALU_DEP_1)
	v_dual_add_f32 v12, 1.0, v8 :: v_dual_cndmask_b32 v10, v11, v10, vcc_lo
	v_cmp_nge_f32_e32 vcc_lo, 1.0, v10
	s_delay_alu instid0(VALU_DEP_2)
	v_cndmask_b32_e32 v8, v12, v8, vcc_lo
	s_cbranch_scc1 .LBB27_341
; %bb.342:
	v_add_nc_u32_e32 v3, 0x7f456416, v3
	s_movk_i32 s5, 0x2710
	s_brev_b32 s4, 12
	s_delay_alu instid0(VALU_DEP_1) | instskip(NEXT) | instid1(VALU_DEP_1)
	v_lshrrev_b32_e32 v9, 19, v3
	v_xor3_b32 v3, v3, v9, 0xc761c23c
	s_delay_alu instid0(VALU_DEP_1) | instskip(NEXT) | instid1(VALU_DEP_1)
	v_lshl_add_u32 v3, v3, 5, v3
	v_add_nc_u32_e32 v9, 0xe9f8cc1d, v3
	v_lshl_add_u32 v3, v3, 9, 0xaccf6200
	s_delay_alu instid0(VALU_DEP_1) | instskip(NEXT) | instid1(VALU_DEP_1)
	v_xor_b32_e32 v3, v9, v3
	v_lshlrev_b32_e32 v9, 3, v3
	s_delay_alu instid0(VALU_DEP_1) | instskip(NEXT) | instid1(VALU_DEP_1)
	v_add3_u32 v3, v3, v9, 0xfd7046c5
	v_lshrrev_b32_e32 v9, 16, v3
	s_delay_alu instid0(VALU_DEP_1) | instskip(NEXT) | instid1(VALU_DEP_1)
	v_xor3_b32 v3, v3, v9, 0xb55a4f09
	v_mul_hi_u32 v9, v3, 3
	s_delay_alu instid0(VALU_DEP_1) | instskip(NEXT) | instid1(VALU_DEP_1)
	v_sub_nc_u32_e32 v10, v3, v9
	v_lshrrev_b32_e32 v10, 1, v10
	s_delay_alu instid0(VALU_DEP_1) | instskip(NEXT) | instid1(VALU_DEP_1)
	v_add_nc_u32_e32 v9, v10, v9
	v_lshrrev_b32_e32 v9, 30, v9
	s_delay_alu instid0(VALU_DEP_1) | instskip(NEXT) | instid1(VALU_DEP_1)
	v_mul_lo_u32 v9, 0x7fffffff, v9
	v_sub_nc_u32_e32 v3, v3, v9
	s_delay_alu instid0(VALU_DEP_1)
	v_max_u32_e32 v9, 1, v3
	v_mov_b32_e32 v3, 0
.LBB27_343:                             ; =>This Inner Loop Header: Depth=1
	s_delay_alu instid0(VALU_DEP_2) | instskip(NEXT) | instid1(VALU_DEP_1)
	v_mul_hi_u32 v10, 0xbc8f1391, v9
	v_lshrrev_b32_e32 v10, 15, v10
	s_delay_alu instid0(VALU_DEP_1) | instskip(NEXT) | instid1(VALU_DEP_1)
	v_mul_u32_u24_e32 v11, 0xadc8, v10
	v_sub_nc_u32_e32 v9, v9, v11
	v_mul_u32_u24_e32 v10, 0xd47, v10
	s_delay_alu instid0(VALU_DEP_2) | instskip(NEXT) | instid1(VALU_DEP_2)
	v_mul_lo_u32 v9, 0xbc8f, v9
	v_xor_b32_e32 v11, 0x7fffffff, v10
	v_sub_nc_u32_e32 v12, 0, v10
	s_delay_alu instid0(VALU_DEP_3) | instskip(NEXT) | instid1(VALU_DEP_2)
	v_cmp_lt_u32_e32 vcc_lo, v9, v10
	v_cndmask_b32_e32 v10, v12, v11, vcc_lo
	s_delay_alu instid0(VALU_DEP_1) | instskip(NEXT) | instid1(VALU_DEP_1)
	v_add_nc_u32_e32 v9, v10, v9
	v_mul_hi_u32 v10, 0xbc8f1391, v9
	s_delay_alu instid0(VALU_DEP_1) | instskip(NEXT) | instid1(VALU_DEP_1)
	v_lshrrev_b32_e32 v10, 15, v10
	v_mul_u32_u24_e32 v11, 0xadc8, v10
	v_mul_u32_u24_e32 v10, 0xd47, v10
	s_delay_alu instid0(VALU_DEP_2) | instskip(NEXT) | instid1(VALU_DEP_2)
	v_sub_nc_u32_e32 v11, v9, v11
	v_xor_b32_e32 v12, 0x7fffffff, v10
	v_add_nc_u32_e32 v9, -1, v9
	s_delay_alu instid0(VALU_DEP_3) | instskip(SKIP_1) | instid1(VALU_DEP_2)
	v_mul_lo_u32 v11, 0xbc8f, v11
	v_sub_nc_u32_e32 v13, 0, v10
	v_cmp_lt_u32_e32 vcc_lo, v11, v10
	s_delay_alu instid0(VALU_DEP_2) | instskip(NEXT) | instid1(VALU_DEP_1)
	v_cndmask_b32_e32 v10, v13, v12, vcc_lo
	v_add_nc_u32_e32 v11, v10, v11
	s_delay_alu instid0(VALU_DEP_1) | instskip(NEXT) | instid1(VALU_DEP_1)
	v_mul_hi_u32 v10, 0xbc8f1391, v11
	v_lshrrev_b32_e32 v10, 15, v10
	s_delay_alu instid0(VALU_DEP_1) | instskip(SKIP_1) | instid1(VALU_DEP_2)
	v_mul_u32_u24_e32 v12, 0xadc8, v10
	v_mul_u32_u24_e32 v10, 0xd47, v10
	v_sub_nc_u32_e32 v12, v11, v12
	s_delay_alu instid0(VALU_DEP_2) | instskip(NEXT) | instid1(VALU_DEP_2)
	v_xor_b32_e32 v13, 0x7fffffff, v10
	v_mul_lo_u32 v12, 0xbc8f, v12
	v_sub_nc_u32_e32 v14, 0, v10
	s_delay_alu instid0(VALU_DEP_2) | instskip(NEXT) | instid1(VALU_DEP_2)
	v_cmp_lt_u32_e32 vcc_lo, v12, v10
	v_dual_cndmask_b32 v10, v14, v13, vcc_lo :: v_dual_add_f32 v14, 1.0, v3
	s_delay_alu instid0(VALU_DEP_1) | instskip(NEXT) | instid1(VALU_DEP_1)
	v_add_nc_u32_e32 v12, v10, v12
	v_mul_hi_u32 v10, 0xbc8f1391, v12
	s_delay_alu instid0(VALU_DEP_1) | instskip(NEXT) | instid1(VALU_DEP_1)
	v_lshrrev_b32_e32 v10, 15, v10
	v_mul_u32_u24_e32 v13, 0xadc8, v10
	v_mul_u32_u24_e32 v15, 0xd47, v10
	v_cvt_f32_u32_e32 v10, v9
	s_delay_alu instid0(VALU_DEP_3) | instskip(NEXT) | instid1(VALU_DEP_3)
	v_sub_nc_u32_e32 v13, v12, v13
	v_xor_b32_e32 v9, 0x7fffffff, v15
	v_dual_sub_nc_u32 v16, 0, v15 :: v_dual_add_nc_u32 v12, -1, v12
	s_delay_alu instid0(VALU_DEP_3) | instskip(NEXT) | instid1(VALU_DEP_2)
	v_mul_lo_u32 v13, 0xbc8f, v13
	v_cvt_f32_u32_e32 v12, v12
	s_delay_alu instid0(VALU_DEP_2) | instskip(NEXT) | instid1(VALU_DEP_4)
	v_cmp_lt_u32_e32 vcc_lo, v13, v15
	v_dual_add_nc_u32 v11, -1, v11 :: v_dual_cndmask_b32 v9, v16, v9, vcc_lo
	s_delay_alu instid0(VALU_DEP_1) | instskip(NEXT) | instid1(VALU_DEP_2)
	v_cvt_f32_u32_e32 v11, v11
	v_add_nc_u32_e32 v9, v9, v13
	s_delay_alu instid0(VALU_DEP_2) | instskip(NEXT) | instid1(VALU_DEP_1)
	v_pk_fma_f32 v[10:11], v[10:11], s[4:5], 0 op_sel_hi:[1,0,0]
	v_pk_mul_f32 v[10:11], v[10:11], v[10:11]
	s_delay_alu instid0(VALU_DEP_1) | instskip(NEXT) | instid1(VALU_DEP_1)
	v_dual_add_nc_u32 v13, -1, v9 :: v_dual_add_f32 v15, v10, v11
	v_cvt_f32_u32_e32 v13, v13
	s_delay_alu instid0(VALU_DEP_2) | instskip(NEXT) | instid1(VALU_DEP_2)
	v_cmp_gt_f32_e32 vcc_lo, 0xf800000, v15
	v_pk_fma_f32 v[10:11], v[12:13], s[4:5], 0 op_sel_hi:[1,0,0]
	s_add_co_i32 s5, s5, -2
	s_delay_alu instid0(SALU_CYCLE_1) | instskip(NEXT) | instid1(VALU_DEP_1)
	s_cmp_lg_u32 s5, 0
	v_pk_mul_f32 v[10:11], v[10:11], v[10:11]
	s_delay_alu instid0(VALU_DEP_1) | instskip(NEXT) | instid1(VALU_DEP_1)
	v_add_f32_e32 v10, v10, v11
	v_dual_mul_f32 v12, 0x4f800000, v15 :: v_dual_mul_f32 v13, 0x4f800000, v10
	s_delay_alu instid0(VALU_DEP_1) | instskip(SKIP_1) | instid1(VALU_DEP_2)
	v_cndmask_b32_e32 v12, v15, v12, vcc_lo
	v_cmp_gt_f32_e64 s2, 0xf800000, v10
	v_sqrt_f32_e32 v11, v12
	v_nop
	s_delay_alu instid0(TRANS32_DEP_1) | instskip(NEXT) | instid1(VALU_DEP_1)
	v_dual_add_nc_u32 v15, -1, v11 :: v_dual_cndmask_b32 v10, v10, v13, s2
	v_dual_add_nc_u32 v13, 1, v11 :: v_dual_fma_f32 v16, -v15, v11, v12
	s_delay_alu instid0(VALU_DEP_2) | instskip(NEXT) | instid1(VALU_DEP_1)
	v_sqrt_f32_e32 v17, v10
	v_fma_f32 v18, -v13, v11, v12
	s_delay_alu instid0(VALU_DEP_2)
	v_cmp_ge_f32_e64 s3, 0, v16
	s_delay_alu instid0(TRANS32_DEP_1) | instid1(VALU_DEP_1)
	v_dual_cndmask_b32 v11, v11, v15, s3 :: v_dual_add_nc_u32 v15, -1, v17
	s_delay_alu instid0(VALU_DEP_3) | instskip(NEXT) | instid1(VALU_DEP_1)
	v_cmp_lt_f32_e64 s3, 0, v18
	v_cndmask_b32_e64 v11, v11, v13, s3
	s_delay_alu instid0(VALU_DEP_3) | instskip(NEXT) | instid1(VALU_DEP_1)
	v_dual_add_nc_u32 v13, 1, v17 :: v_dual_fma_f32 v16, -v15, v17, v10
	v_fma_f32 v19, -v13, v17, v10
	s_delay_alu instid0(VALU_DEP_2) | instskip(NEXT) | instid1(VALU_DEP_1)
	v_cmp_ge_f32_e64 s3, 0, v16
	v_cndmask_b32_e64 v15, v17, v15, s3
	v_mul_f32_e32 v18, 0x37800000, v11
	s_delay_alu instid0(VALU_DEP_4) | instskip(NEXT) | instid1(VALU_DEP_1)
	v_cmp_lt_f32_e64 s3, 0, v19
	v_cndmask_b32_e64 v13, v15, v13, s3
	s_delay_alu instid0(VALU_DEP_3) | instskip(SKIP_1) | instid1(VALU_DEP_2)
	v_cndmask_b32_e32 v11, v11, v18, vcc_lo
	v_cmp_class_f32_e64 vcc_lo, v12, 0x260
	v_cndmask_b32_e32 v11, v11, v12, vcc_lo
	s_delay_alu instid0(VALU_DEP_1) | instskip(SKIP_2) | instid1(VALU_DEP_2)
	v_cmp_nge_f32_e32 vcc_lo, 1.0, v11
	v_dual_cndmask_b32 v3, v14, v3 :: v_dual_mul_f32 v12, 0x37800000, v13
	v_cmp_class_f32_e64 vcc_lo, v10, 0x260
	v_dual_cndmask_b32 v11, v13, v12, s2 :: v_dual_add_f32 v12, 1.0, v3
	s_delay_alu instid0(VALU_DEP_1) | instskip(NEXT) | instid1(VALU_DEP_1)
	v_cndmask_b32_e32 v10, v11, v10, vcc_lo
	v_cmp_nge_f32_e32 vcc_lo, 1.0, v10
	s_delay_alu instid0(VALU_DEP_3)
	v_cndmask_b32_e32 v3, v12, v3, vcc_lo
	s_cbranch_scc1 .LBB27_343
; %bb.344:
	v_dual_mul_f32 v1, 4.0, v1 :: v_dual_mul_f32 v2, 4.0, v2
	v_dual_mul_f32 v4, 4.0, v4 :: v_dual_mul_f32 v5, 4.0, v5
	v_mul_f32_e32 v7, 4.0, v7
	s_delay_alu instid0(VALU_DEP_3) | instskip(NEXT) | instid1(VALU_DEP_4)
	v_div_scale_f32 v9, null, 0x461c4000, 0x461c4000, v1
	v_div_scale_f32 v10, null, 0x461c4000, 0x461c4000, v2
	s_delay_alu instid0(VALU_DEP_4) | instskip(NEXT) | instid1(VALU_DEP_3)
	v_div_scale_f32 v11, null, 0x461c4000, 0x461c4000, v4
	v_rcp_f32_e32 v12, v9
	s_delay_alu instid0(VALU_DEP_2) | instskip(SKIP_1) | instid1(VALU_DEP_2)
	v_rcp_f32_e32 v13, v10
	v_div_scale_f32 v19, null, 0x461c4000, 0x461c4000, v5
	v_rcp_f32_e32 v15, v11
	v_div_scale_f32 v14, vcc_lo, v1, 0x461c4000, v1
	s_delay_alu instid0(TRANS32_DEP_3) | instskip(NEXT) | instid1(TRANS32_DEP_2)
	v_fma_f32 v17, -v9, v12, 1.0
	v_fma_f32 v18, -v10, v13, 1.0
	v_div_scale_f32 v16, s2, v2, 0x461c4000, v2
	s_delay_alu instid0(TRANS32_DEP_1) | instskip(NEXT) | instid1(VALU_DEP_3)
	v_fma_f32 v20, -v11, v15, 1.0
	v_dual_fmac_f32 v12, v17, v12 :: v_dual_fmac_f32 v13, v18, v13
	v_div_scale_f32 v17, s3, v4, 0x461c4000, v4
	s_delay_alu instid0(VALU_DEP_2) | instskip(SKIP_1) | instid1(VALU_DEP_3)
	v_dual_fmac_f32 v15, v20, v15 :: v_dual_mul_f32 v18, v14, v12
	v_rcp_f32_e32 v20, v19
	v_dual_mul_f32 v21, v16, v13 :: v_dual_mul_f32 v3, 4.0, v3
	s_delay_alu instid0(VALU_DEP_2) | instskip(NEXT) | instid1(VALU_DEP_2)
	v_mul_f32_e32 v22, v17, v15
	v_dual_fma_f32 v23, -v9, v18, v14 :: v_dual_fma_f32 v24, -v10, v21, v16
	s_delay_alu instid0(TRANS32_DEP_1) | instskip(NEXT) | instid1(VALU_DEP_3)
	v_fma_f32 v25, -v19, v20, 1.0
	v_fma_f32 v26, -v11, v22, v17
	s_delay_alu instid0(VALU_DEP_3) | instskip(NEXT) | instid1(VALU_DEP_3)
	v_dual_fmac_f32 v18, v23, v12 :: v_dual_fmac_f32 v21, v24, v13
	v_dual_fmac_f32 v20, v25, v20 :: v_dual_mul_f32 v6, 4.0, v6
	s_delay_alu instid0(VALU_DEP_3) | instskip(NEXT) | instid1(VALU_DEP_3)
	v_fmac_f32_e32 v22, v26, v15
	v_dual_fma_f32 v9, -v9, v18, v14 :: v_dual_fma_f32 v10, -v10, v21, v16
	v_div_scale_f32 v14, s4, v5, 0x461c4000, v5
	s_delay_alu instid0(VALU_DEP_4) | instskip(NEXT) | instid1(VALU_DEP_3)
	v_div_scale_f32 v16, null, 0x461c4000, 0x461c4000, v6
	v_div_fmas_f32 v9, v9, v12, v18
	s_mov_b32 vcc_lo, s2
	v_fma_f32 v11, -v11, v22, v17
	s_delay_alu instid0(VALU_DEP_3) | instskip(SKIP_4) | instid1(VALU_DEP_3)
	v_rcp_f32_e32 v12, v16
	v_div_fmas_f32 v10, v10, v13, v21
	v_mul_f32_e32 v13, v14, v20
	v_div_fixup_f32 v1, v9, 0x461c4000, v1
	s_mov_b32 vcc_lo, s3
	v_div_fixup_f32 v2, v10, 0x461c4000, v2
	s_delay_alu instid0(VALU_DEP_3)
	v_fma_f32 v9, -v19, v13, v14
	v_fma_f32 v10, -v16, v12, 1.0
	v_div_fmas_f32 v11, v11, v15, v22
	s_mov_b32 vcc_lo, s4
	v_div_scale_f32 v22, null, 0x461c4000, 0x461c4000, v3
	v_fmac_f32_e32 v13, v9, v20
	v_fmac_f32_e32 v12, v10, v12
	v_div_scale_f32 v10, s2, v6, 0x461c4000, v6
	v_div_scale_f32 v9, null, 0x461c4000, 0x461c4000, v7
	s_delay_alu instid0(VALU_DEP_2) | instskip(SKIP_2) | instid1(VALU_DEP_4)
	v_dual_fma_f32 v14, -v19, v13, v14 :: v_dual_mul_f32 v17, v10, v12
	v_mul_f32_e32 v8, 4.0, v8
	v_div_fixup_f32 v4, v11, 0x461c4000, v4
	v_rcp_f32_e32 v15, v9
	v_rcp_f32_e32 v24, v22
	v_fma_f32 v21, -v16, v17, v10
	v_div_scale_f32 v11, null, 0x461c4000, 0x461c4000, v8
	v_div_fmas_f32 v13, v14, v20, v13
	v_div_scale_f32 v20, s4, v8, 0x461c4000, v8
	s_delay_alu instid0(VALU_DEP_3) | instskip(SKIP_1) | instid1(VALU_DEP_3)
	v_rcp_f32_e32 v19, v11
	v_fma_f32 v18, -v9, v15, 1.0
	v_div_fixup_f32 v5, v13, 0x461c4000, v5
	s_mov_b32 vcc_lo, s2
	s_mov_b32 s2, exec_lo
	s_delay_alu instid0(TRANS32_DEP_1) | instskip(NEXT) | instid1(VALU_DEP_1)
	v_fma_f32 v23, -v11, v19, 1.0
	v_fmac_f32_e32 v19, v23, v19
	v_dual_fmac_f32 v15, v18, v15 :: v_dual_fmac_f32 v17, v21, v12
	v_div_scale_f32 v18, s3, v7, 0x461c4000, v7
	v_fma_f32 v21, -v22, v24, 1.0
	s_delay_alu instid0(VALU_DEP_2) | instskip(NEXT) | instid1(VALU_DEP_2)
	v_dual_fma_f32 v10, -v16, v17, v10 :: v_dual_mul_f32 v14, v18, v15
	v_dual_mul_f32 v16, v20, v19 :: v_dual_fmac_f32 v24, v21, v24
	v_div_scale_f32 v21, s5, v3, 0x461c4000, v3
	s_delay_alu instid0(VALU_DEP_3) | instskip(NEXT) | instid1(VALU_DEP_4)
	v_fma_f32 v13, -v9, v14, v18
	v_div_fmas_f32 v10, v10, v12, v17
	s_delay_alu instid0(VALU_DEP_4) | instskip(SKIP_1) | instid1(VALU_DEP_3)
	v_fma_f32 v12, -v11, v16, v20
	s_mov_b32 vcc_lo, s3
	v_fmac_f32_e32 v14, v13, v15
	s_delay_alu instid0(VALU_DEP_2) | instskip(SKIP_2) | instid1(VALU_DEP_3)
	v_dual_mul_f32 v13, v21, v24 :: v_dual_fmac_f32 v16, v12, v19
	v_add_f32_e32 v1, v1, v2
	v_div_fixup_f32 v2, v10, 0x461c4000, v6
	v_dual_fma_f32 v6, -v9, v14, v18 :: v_dual_fma_f32 v9, -v22, v13, v21
	s_delay_alu instid0(VALU_DEP_1) | instskip(NEXT) | instid1(VALU_DEP_4)
	v_fmac_f32_e32 v13, v9, v24
	v_add_f32_e32 v1, v1, v4
	s_delay_alu instid0(VALU_DEP_3) | instskip(SKIP_2) | instid1(VALU_DEP_3)
	v_div_fmas_f32 v4, v6, v15, v14
	v_fma_f32 v6, -v11, v16, v20
	s_mov_b32 vcc_lo, s4
	v_add_f32_e32 v1, v1, v5
	s_delay_alu instid0(VALU_DEP_3) | instskip(NEXT) | instid1(VALU_DEP_3)
	v_div_fixup_f32 v4, v4, 0x461c4000, v7
	v_div_fmas_f32 v5, v6, v19, v16
	v_fma_f32 v6, -v22, v13, v21
	s_mov_b32 vcc_lo, s5
	v_add_f32_e32 v1, v1, v2
	s_delay_alu instid0(VALU_DEP_3) | instskip(NEXT) | instid1(VALU_DEP_3)
	v_div_fixup_f32 v2, v5, 0x461c4000, v8
	v_div_fmas_f32 v5, v6, v24, v13
	s_delay_alu instid0(VALU_DEP_3) | instskip(NEXT) | instid1(VALU_DEP_2)
	v_add_f32_e32 v1, v1, v4
	v_div_fixup_f32 v3, v5, 0x461c4000, v3
	s_delay_alu instid0(VALU_DEP_2) | instskip(NEXT) | instid1(VALU_DEP_1)
	v_add_f32_e32 v1, v1, v2
	v_add_f32_e32 v1, v1, v3
	s_delay_alu instid0(VALU_DEP_1) | instskip(NEXT) | instid1(VALU_DEP_1)
	v_mov_b32_dpp v2, v1 quad_perm:[1,0,3,2] row_mask:0xf bank_mask:0xf
	v_add_f32_e32 v1, v1, v2
	s_delay_alu instid0(VALU_DEP_1) | instskip(NEXT) | instid1(VALU_DEP_1)
	v_mov_b32_dpp v2, v1 quad_perm:[2,3,0,1] row_mask:0xf bank_mask:0xf
	v_add_f32_e32 v1, v1, v2
	s_delay_alu instid0(VALU_DEP_1) | instskip(NEXT) | instid1(VALU_DEP_1)
	v_mov_b32_dpp v2, v1 row_ror:4 row_mask:0xf bank_mask:0xf
	v_add_f32_e32 v1, v1, v2
	s_delay_alu instid0(VALU_DEP_1) | instskip(NEXT) | instid1(VALU_DEP_1)
	v_mov_b32_dpp v2, v1 row_ror:8 row_mask:0xf bank_mask:0xf
	v_add_f32_e32 v1, v1, v2
	ds_swizzle_b32 v2, v1 offset:swizzle(BROADCAST,32,15)
	s_wait_dscnt 0x0
	v_dual_add_f32 v1, v1, v2 :: v_dual_mov_b32 v2, 0
	ds_bpermute_b32 v1, v2, v1 offset:124
	v_mbcnt_lo_u32_b32 v2, -1, 0
	s_delay_alu instid0(VALU_DEP_1)
	v_cmpx_eq_u32_e32 0, v2
	s_cbranch_execz .LBB27_346
; %bb.345:
	v_lshrrev_b32_e32 v3, 3, v0
	s_delay_alu instid0(VALU_DEP_1)
	v_and_b32_e32 v3, 28, v3
	s_wait_dscnt 0x0
	ds_store_b32 v3, v1 offset:160
.LBB27_346:
	s_or_b32 exec_lo, exec_lo, s2
	s_delay_alu instid0(SALU_CYCLE_1)
	s_mov_b32 s2, exec_lo
	s_wait_dscnt 0x0
	s_barrier_signal -1
	s_barrier_wait -1
	v_cmpx_gt_u32_e32 32, v0
	s_cbranch_execz .LBB27_348
; %bb.347:
	v_and_b32_e32 v1, 7, v2
	s_delay_alu instid0(VALU_DEP_1) | instskip(SKIP_1) | instid1(VALU_DEP_1)
	v_cmp_ne_u32_e32 vcc_lo, 7, v1
	v_add_co_ci_u32_e64 v4, null, 0, v2, vcc_lo
	v_lshlrev_b32_e32 v4, 2, v4
	v_cmp_gt_u32_e32 vcc_lo, 6, v1
	v_lshlrev_b32_e32 v3, 2, v1
	v_cndmask_b32_e64 v1, 0, 2, vcc_lo
	s_delay_alu instid0(VALU_DEP_1)
	v_add_lshl_u32 v1, v1, v2, 2
	v_lshlrev_b32_e32 v2, 2, v2
	ds_load_b32 v3, v3 offset:160
	v_or_b32_e32 v2, 16, v2
	s_wait_dscnt 0x0
	ds_bpermute_b32 v4, v4, v3
	s_wait_dscnt 0x0
	v_add_f32_e32 v3, v3, v4
	ds_bpermute_b32 v1, v1, v3
	s_wait_dscnt 0x0
	v_add_f32_e32 v1, v3, v1
	;; [unrolled: 3-line block ×3, first 2 shown]
.LBB27_348:
	s_or_b32 exec_lo, exec_lo, s2
	s_branch .LBB27_389
.LBB27_349:
                                        ; implicit-def: $vgpr1
                                        ; implicit-def: $sgpr40_sgpr41
.LBB27_350:
	s_branch .LBB27_474
.LBB27_351:
                                        ; implicit-def: $vgpr1
	s_cbranch_execz .LBB27_389
; %bb.352:
	v_mov_b32_e32 v2, 0
	s_sub_co_i32 s13, s36, s6
	s_mov_b32 s5, exec_lo
	s_delay_alu instid0(VALU_DEP_1)
	v_dual_mov_b32 v1, v2 :: v_dual_mov_b32 v4, v2
	v_dual_mov_b32 v3, v2 :: v_dual_mov_b32 v6, v2
	;; [unrolled: 1-line block ×3, first 2 shown]
	v_mov_b32_e32 v7, v2
	v_cmpx_gt_u32_e64 s13, v0
	s_cbranch_execz .LBB27_356
; %bb.353:
	v_add_nc_u32_e32 v1, s11, v0
	s_movk_i32 s6, 0x2710
	s_brev_b32 s4, 12
	s_delay_alu instid0(VALU_DEP_1) | instskip(NEXT) | instid1(VALU_DEP_1)
	v_lshlrev_b32_e32 v3, 12, v1
	v_add3_u32 v1, v1, v3, 0x7ed55d16
	s_delay_alu instid0(VALU_DEP_1) | instskip(NEXT) | instid1(VALU_DEP_1)
	v_lshrrev_b32_e32 v3, 19, v1
	v_xor3_b32 v1, v1, v3, 0xc761c23c
	s_delay_alu instid0(VALU_DEP_1) | instskip(NEXT) | instid1(VALU_DEP_1)
	v_lshl_add_u32 v1, v1, 5, v1
	v_add_nc_u32_e32 v3, 0xe9f8cc1d, v1
	v_lshl_add_u32 v1, v1, 9, 0xaccf6200
	s_delay_alu instid0(VALU_DEP_1) | instskip(NEXT) | instid1(VALU_DEP_1)
	v_xor_b32_e32 v1, v3, v1
	v_lshlrev_b32_e32 v3, 3, v1
	s_delay_alu instid0(VALU_DEP_1) | instskip(NEXT) | instid1(VALU_DEP_1)
	v_add3_u32 v1, v1, v3, 0xfd7046c5
	v_lshrrev_b32_e32 v3, 16, v1
	s_delay_alu instid0(VALU_DEP_1) | instskip(NEXT) | instid1(VALU_DEP_1)
	v_xor3_b32 v1, v1, v3, 0xb55a4f09
	v_mul_hi_u32 v3, v1, 3
	s_delay_alu instid0(VALU_DEP_1) | instskip(NEXT) | instid1(VALU_DEP_1)
	v_sub_nc_u32_e32 v4, v1, v3
	v_lshrrev_b32_e32 v4, 1, v4
	s_delay_alu instid0(VALU_DEP_1) | instskip(NEXT) | instid1(VALU_DEP_1)
	v_add_nc_u32_e32 v3, v4, v3
	v_lshrrev_b32_e32 v3, 30, v3
	s_delay_alu instid0(VALU_DEP_1) | instskip(NEXT) | instid1(VALU_DEP_1)
	v_mul_lo_u32 v3, 0x7fffffff, v3
	v_sub_nc_u32_e32 v1, v1, v3
	s_delay_alu instid0(VALU_DEP_1)
	v_max_u32_e32 v1, 1, v1
.LBB27_354:                             ; =>This Inner Loop Header: Depth=1
	s_delay_alu instid0(VALU_DEP_1) | instskip(SKIP_1) | instid1(VALU_DEP_2)
	v_mul_hi_u32 v3, 0xbc8f1391, v1
	s_add_co_i32 s6, s6, -2
	v_add_f32_e32 v8, 1.0, v2
	s_cmp_lg_u32 s6, 0
	s_delay_alu instid0(VALU_DEP_2) | instskip(NEXT) | instid1(VALU_DEP_1)
	v_lshrrev_b32_e32 v3, 15, v3
	v_mul_u32_u24_e32 v4, 0xadc8, v3
	s_delay_alu instid0(VALU_DEP_1) | instskip(SKIP_1) | instid1(VALU_DEP_2)
	v_sub_nc_u32_e32 v1, v1, v4
	v_mul_u32_u24_e32 v3, 0xd47, v3
	v_mul_lo_u32 v1, 0xbc8f, v1
	s_delay_alu instid0(VALU_DEP_2) | instskip(SKIP_1) | instid1(VALU_DEP_3)
	v_xor_b32_e32 v4, 0x7fffffff, v3
	v_sub_nc_u32_e32 v5, 0, v3
	v_cmp_lt_u32_e32 vcc_lo, v1, v3
	s_delay_alu instid0(VALU_DEP_2) | instskip(NEXT) | instid1(VALU_DEP_1)
	v_cndmask_b32_e32 v3, v5, v4, vcc_lo
	v_add_nc_u32_e32 v1, v3, v1
	s_delay_alu instid0(VALU_DEP_1) | instskip(NEXT) | instid1(VALU_DEP_1)
	v_mul_hi_u32 v3, 0xbc8f1391, v1
	v_lshrrev_b32_e32 v3, 15, v3
	s_delay_alu instid0(VALU_DEP_1) | instskip(NEXT) | instid1(VALU_DEP_1)
	v_mul_u32_u24_e32 v4, 0xadc8, v3
	v_sub_nc_u32_e32 v4, v1, v4
	v_mul_u32_u24_e32 v3, 0xd47, v3
	s_delay_alu instid0(VALU_DEP_2) | instskip(NEXT) | instid1(VALU_DEP_2)
	v_mul_lo_u32 v4, 0xbc8f, v4
	v_xor_b32_e32 v5, 0x7fffffff, v3
	v_sub_nc_u32_e32 v6, 0, v3
	s_delay_alu instid0(VALU_DEP_3) | instskip(NEXT) | instid1(VALU_DEP_2)
	v_cmp_lt_u32_e32 vcc_lo, v4, v3
	v_cndmask_b32_e32 v3, v6, v5, vcc_lo
	s_delay_alu instid0(VALU_DEP_1) | instskip(NEXT) | instid1(VALU_DEP_1)
	v_dual_add_nc_u32 v3, v3, v4 :: v_dual_add_nc_u32 v1, -1, v1
	v_mul_hi_u32 v4, 0xbc8f1391, v3
	s_delay_alu instid0(VALU_DEP_1) | instskip(NEXT) | instid1(VALU_DEP_1)
	v_lshrrev_b32_e32 v4, 15, v4
	v_mul_u32_u24_e32 v5, 0xadc8, v4
	v_mul_u32_u24_e32 v4, 0xd47, v4
	s_delay_alu instid0(VALU_DEP_2) | instskip(NEXT) | instid1(VALU_DEP_2)
	v_sub_nc_u32_e32 v5, v3, v5
	v_xor_b32_e32 v6, 0x7fffffff, v4
	v_dual_sub_nc_u32 v7, 0, v4 :: v_dual_add_nc_u32 v3, -1, v3
	s_delay_alu instid0(VALU_DEP_3) | instskip(NEXT) | instid1(VALU_DEP_1)
	v_mul_lo_u32 v5, 0xbc8f, v5
	v_cmp_lt_u32_e32 vcc_lo, v5, v4
	s_delay_alu instid0(VALU_DEP_3) | instskip(NEXT) | instid1(VALU_DEP_1)
	v_cndmask_b32_e32 v4, v7, v6, vcc_lo
	v_add_nc_u32_e32 v6, v4, v5
	s_delay_alu instid0(VALU_DEP_1) | instskip(NEXT) | instid1(VALU_DEP_1)
	v_mul_hi_u32 v4, 0xbc8f1391, v6
	v_lshrrev_b32_e32 v4, 15, v4
	s_delay_alu instid0(VALU_DEP_1) | instskip(NEXT) | instid1(VALU_DEP_1)
	v_mul_u32_u24_e32 v5, 0xadc8, v4
	v_sub_nc_u32_e32 v5, v6, v5
	s_delay_alu instid0(VALU_DEP_1) | instskip(SKIP_2) | instid1(VALU_DEP_2)
	v_mul_lo_u32 v7, 0xbc8f, v5
	v_mul_u32_u24_e32 v5, 0xd47, v4
	v_cvt_f32_u32_e32 v4, v1
	v_xor_b32_e32 v1, 0x7fffffff, v5
	v_sub_nc_u32_e32 v9, 0, v5
	v_cmp_lt_u32_e32 vcc_lo, v7, v5
	v_cvt_f32_u32_e32 v5, v3
	s_delay_alu instid0(VALU_DEP_3) | instskip(NEXT) | instid1(VALU_DEP_2)
	v_dual_add_nc_u32 v3, -1, v6 :: v_dual_cndmask_b32 v1, v9, v1, vcc_lo
	v_pk_fma_f32 v[4:5], v[4:5], s[4:5], 0 op_sel_hi:[1,0,0]
	s_delay_alu instid0(VALU_DEP_2) | instskip(NEXT) | instid1(VALU_DEP_3)
	v_cvt_f32_u32_e32 v6, v3
	v_add_nc_u32_e32 v1, v1, v7
	s_delay_alu instid0(VALU_DEP_3) | instskip(NEXT) | instid1(VALU_DEP_1)
	v_pk_mul_f32 v[4:5], v[4:5], v[4:5]
	v_add_f32_e32 v3, v4, v5
	s_delay_alu instid0(VALU_DEP_3) | instskip(NEXT) | instid1(VALU_DEP_1)
	v_add_nc_u32_e32 v7, -1, v1
	v_cvt_f32_u32_e32 v7, v7
	s_delay_alu instid0(VALU_DEP_1) | instskip(NEXT) | instid1(VALU_DEP_1)
	v_pk_fma_f32 v[4:5], v[6:7], s[4:5], 0 op_sel_hi:[1,0,0]
	v_pk_mul_f32 v[4:5], v[4:5], v[4:5]
	s_delay_alu instid0(VALU_DEP_1) | instskip(SKIP_2) | instid1(VALU_DEP_3)
	v_add_f32_e32 v4, v4, v5
	v_mul_f32_e32 v6, 0x4f800000, v3
	v_cmp_gt_f32_e32 vcc_lo, 0xf800000, v3
	v_cmp_gt_f32_e64 s2, 0xf800000, v4
	s_delay_alu instid0(VALU_DEP_3) | instskip(NEXT) | instid1(VALU_DEP_1)
	v_dual_cndmask_b32 v3, v3, v6 :: v_dual_mul_f32 v6, 0x4f800000, v4
	v_sqrt_f32_e32 v5, v3
	s_delay_alu instid0(VALU_DEP_1) | instskip(NEXT) | instid1(VALU_DEP_1)
	v_cndmask_b32_e64 v4, v4, v6, s2
	v_sqrt_f32_e32 v10, v4
	s_delay_alu instid0(TRANS32_DEP_2) | instskip(NEXT) | instid1(VALU_DEP_1)
	v_dual_add_nc_u32 v7, -1, v5 :: v_dual_add_nc_u32 v6, 1, v5
	v_fma_f32 v9, -v7, v5, v3
	s_delay_alu instid0(VALU_DEP_1) | instskip(NEXT) | instid1(VALU_DEP_1)
	v_cmp_ge_f32_e64 s3, 0, v9
	v_dual_fma_f32 v11, -v6, v5, v3 :: v_dual_cndmask_b32 v5, v5, v7, s3
	s_delay_alu instid0(VALU_DEP_1) | instskip(NEXT) | instid1(TRANS32_DEP_1)
	v_cmp_lt_f32_e64 s3, 0, v11
	v_add_nc_u32_e32 v7, -1, v10
	s_delay_alu instid0(VALU_DEP_2) | instskip(NEXT) | instid1(VALU_DEP_2)
	v_cndmask_b32_e64 v5, v5, v6, s3
	v_dual_add_nc_u32 v6, 1, v10 :: v_dual_fma_f32 v9, -v7, v10, v4
	s_delay_alu instid0(VALU_DEP_1) | instskip(NEXT) | instid1(VALU_DEP_2)
	v_fma_f32 v12, -v6, v10, v4
	v_cmp_ge_f32_e64 s3, 0, v9
	s_delay_alu instid0(VALU_DEP_1) | instskip(SKIP_1) | instid1(VALU_DEP_4)
	v_cndmask_b32_e64 v7, v10, v7, s3
	v_mul_f32_e32 v11, 0x37800000, v5
	v_cmp_lt_f32_e64 s3, 0, v12
	s_delay_alu instid0(VALU_DEP_1) | instskip(SKIP_1) | instid1(VALU_DEP_2)
	v_dual_cndmask_b32 v5, v5, v11, vcc_lo :: v_dual_cndmask_b32 v6, v7, v6, s3
	v_cmp_class_f32_e64 vcc_lo, v3, 0x260
	v_cndmask_b32_e32 v3, v5, v3, vcc_lo
	s_delay_alu instid0(VALU_DEP_3) | instskip(NEXT) | instid1(VALU_DEP_2)
	v_mul_f32_e32 v5, 0x37800000, v6
	v_cmp_nge_f32_e32 vcc_lo, 1.0, v3
	s_delay_alu instid0(VALU_DEP_2) | instskip(SKIP_1) | instid1(VALU_DEP_1)
	v_dual_cndmask_b32 v2, v8, v2, vcc_lo :: v_dual_cndmask_b32 v3, v6, v5, s2
	v_cmp_class_f32_e64 vcc_lo, v4, 0x260
	v_dual_add_f32 v5, 1.0, v2 :: v_dual_cndmask_b32 v3, v3, v4, vcc_lo
	s_delay_alu instid0(VALU_DEP_1) | instskip(NEXT) | instid1(VALU_DEP_2)
	v_cmp_nge_f32_e32 vcc_lo, 1.0, v3
	v_cndmask_b32_e32 v2, v5, v2, vcc_lo
	s_cbranch_scc1 .LBB27_354
; %bb.355:
	s_delay_alu instid0(VALU_DEP_1) | instskip(NEXT) | instid1(VALU_DEP_1)
	v_mul_f32_e32 v2, 4.0, v2
	v_div_scale_f32 v3, null, 0x461c4000, 0x461c4000, v2
	s_delay_alu instid0(VALU_DEP_1) | instskip(SKIP_1) | instid1(TRANS32_DEP_1)
	v_rcp_f32_e32 v5, v3
	v_nop
	v_fma_f32 v1, -v3, v5, 1.0
	s_delay_alu instid0(VALU_DEP_1) | instskip(SKIP_1) | instid1(VALU_DEP_1)
	v_fmac_f32_e32 v5, v1, v5
	v_div_scale_f32 v4, vcc_lo, v2, 0x461c4000, v2
	v_mul_f32_e32 v6, v4, v5
	s_delay_alu instid0(VALU_DEP_1) | instskip(NEXT) | instid1(VALU_DEP_1)
	v_fma_f32 v1, -v3, v6, v4
	v_dual_fmac_f32 v6, v1, v5 :: v_dual_mov_b32 v1, 0
	s_delay_alu instid0(VALU_DEP_1) | instskip(SKIP_1) | instid1(VALU_DEP_2)
	v_dual_fma_f32 v3, -v3, v6, v4 :: v_dual_mov_b32 v4, v1
	v_mov_b32_e32 v8, v1
	v_div_fmas_f32 v7, v3, v5, v6
	v_dual_mov_b32 v3, v1 :: v_dual_mov_b32 v6, v1
	v_mov_b32_e32 v5, v1
	s_delay_alu instid0(VALU_DEP_3)
	v_div_fixup_f32 v2, v7, 0x461c4000, v2
	v_mov_b32_e32 v7, v1
.LBB27_356:
	s_or_b32 exec_lo, exec_lo, s5
	v_or_b32_e32 v9, 0x100, v0
	s_delay_alu instid0(VALU_DEP_1)
	v_cmp_gt_u32_e64 s2, s13, v9
	s_and_saveexec_b32 s5, s2
	s_cbranch_execz .LBB27_360
; %bb.357:
	v_add_nc_u32_e32 v1, s11, v9
	s_movk_i32 s7, 0x2710
	s_brev_b32 s6, 12
	s_delay_alu instid0(VALU_DEP_1) | instskip(NEXT) | instid1(VALU_DEP_1)
	v_lshlrev_b32_e32 v9, 12, v1
	v_add3_u32 v1, v1, v9, 0x7ed55d16
	s_delay_alu instid0(VALU_DEP_1) | instskip(NEXT) | instid1(VALU_DEP_1)
	v_lshrrev_b32_e32 v9, 19, v1
	v_xor3_b32 v1, v1, v9, 0xc761c23c
	s_delay_alu instid0(VALU_DEP_1) | instskip(NEXT) | instid1(VALU_DEP_1)
	v_lshl_add_u32 v1, v1, 5, v1
	v_add_nc_u32_e32 v9, 0xe9f8cc1d, v1
	v_lshl_add_u32 v1, v1, 9, 0xaccf6200
	s_delay_alu instid0(VALU_DEP_1) | instskip(NEXT) | instid1(VALU_DEP_1)
	v_xor_b32_e32 v1, v9, v1
	v_lshlrev_b32_e32 v9, 3, v1
	s_delay_alu instid0(VALU_DEP_1) | instskip(NEXT) | instid1(VALU_DEP_1)
	v_add3_u32 v1, v1, v9, 0xfd7046c5
	v_lshrrev_b32_e32 v9, 16, v1
	s_delay_alu instid0(VALU_DEP_1) | instskip(NEXT) | instid1(VALU_DEP_1)
	v_xor3_b32 v1, v1, v9, 0xb55a4f09
	v_mul_hi_u32 v9, v1, 3
	s_delay_alu instid0(VALU_DEP_1) | instskip(NEXT) | instid1(VALU_DEP_1)
	v_sub_nc_u32_e32 v10, v1, v9
	v_lshrrev_b32_e32 v10, 1, v10
	s_delay_alu instid0(VALU_DEP_1) | instskip(NEXT) | instid1(VALU_DEP_1)
	v_add_nc_u32_e32 v9, v10, v9
	v_lshrrev_b32_e32 v9, 30, v9
	s_delay_alu instid0(VALU_DEP_1) | instskip(NEXT) | instid1(VALU_DEP_1)
	v_mul_lo_u32 v9, 0x7fffffff, v9
	v_sub_nc_u32_e32 v1, v1, v9
	s_delay_alu instid0(VALU_DEP_1)
	v_max_u32_e32 v9, 1, v1
	v_mov_b32_e32 v1, 0
.LBB27_358:                             ; =>This Inner Loop Header: Depth=1
	s_delay_alu instid0(VALU_DEP_2) | instskip(NEXT) | instid1(VALU_DEP_1)
	v_mul_hi_u32 v10, 0xbc8f1391, v9
	v_lshrrev_b32_e32 v10, 15, v10
	s_delay_alu instid0(VALU_DEP_1) | instskip(NEXT) | instid1(VALU_DEP_1)
	v_mul_u32_u24_e32 v11, 0xadc8, v10
	v_sub_nc_u32_e32 v9, v9, v11
	v_mul_u32_u24_e32 v10, 0xd47, v10
	s_delay_alu instid0(VALU_DEP_2) | instskip(NEXT) | instid1(VALU_DEP_2)
	v_mul_lo_u32 v9, 0xbc8f, v9
	v_xor_b32_e32 v11, 0x7fffffff, v10
	v_sub_nc_u32_e32 v12, 0, v10
	s_delay_alu instid0(VALU_DEP_3) | instskip(NEXT) | instid1(VALU_DEP_2)
	v_cmp_lt_u32_e32 vcc_lo, v9, v10
	v_cndmask_b32_e32 v10, v12, v11, vcc_lo
	s_delay_alu instid0(VALU_DEP_1) | instskip(NEXT) | instid1(VALU_DEP_1)
	v_add_nc_u32_e32 v9, v10, v9
	v_mul_hi_u32 v10, 0xbc8f1391, v9
	s_delay_alu instid0(VALU_DEP_1) | instskip(NEXT) | instid1(VALU_DEP_1)
	v_lshrrev_b32_e32 v10, 15, v10
	v_mul_u32_u24_e32 v11, 0xadc8, v10
	v_mul_u32_u24_e32 v10, 0xd47, v10
	s_delay_alu instid0(VALU_DEP_2) | instskip(NEXT) | instid1(VALU_DEP_2)
	v_sub_nc_u32_e32 v11, v9, v11
	v_xor_b32_e32 v12, 0x7fffffff, v10
	v_add_nc_u32_e32 v9, -1, v9
	s_delay_alu instid0(VALU_DEP_3) | instskip(SKIP_1) | instid1(VALU_DEP_2)
	v_mul_lo_u32 v11, 0xbc8f, v11
	v_sub_nc_u32_e32 v13, 0, v10
	v_cmp_lt_u32_e32 vcc_lo, v11, v10
	s_delay_alu instid0(VALU_DEP_2) | instskip(NEXT) | instid1(VALU_DEP_1)
	v_cndmask_b32_e32 v10, v13, v12, vcc_lo
	v_add_nc_u32_e32 v11, v10, v11
	s_delay_alu instid0(VALU_DEP_1) | instskip(NEXT) | instid1(VALU_DEP_1)
	v_mul_hi_u32 v10, 0xbc8f1391, v11
	v_lshrrev_b32_e32 v10, 15, v10
	s_delay_alu instid0(VALU_DEP_1) | instskip(SKIP_1) | instid1(VALU_DEP_2)
	v_mul_u32_u24_e32 v12, 0xadc8, v10
	v_mul_u32_u24_e32 v10, 0xd47, v10
	v_sub_nc_u32_e32 v12, v11, v12
	s_delay_alu instid0(VALU_DEP_2) | instskip(NEXT) | instid1(VALU_DEP_2)
	v_xor_b32_e32 v13, 0x7fffffff, v10
	v_mul_lo_u32 v12, 0xbc8f, v12
	v_sub_nc_u32_e32 v14, 0, v10
	s_delay_alu instid0(VALU_DEP_2) | instskip(NEXT) | instid1(VALU_DEP_2)
	v_cmp_lt_u32_e32 vcc_lo, v12, v10
	v_cndmask_b32_e32 v10, v14, v13, vcc_lo
	s_delay_alu instid0(VALU_DEP_1) | instskip(NEXT) | instid1(VALU_DEP_1)
	v_dual_add_f32 v14, 1.0, v1 :: v_dual_add_nc_u32 v12, v10, v12
	v_mul_hi_u32 v10, 0xbc8f1391, v12
	s_delay_alu instid0(VALU_DEP_1) | instskip(NEXT) | instid1(VALU_DEP_1)
	v_lshrrev_b32_e32 v10, 15, v10
	v_mul_u32_u24_e32 v13, 0xadc8, v10
	v_mul_u32_u24_e32 v15, 0xd47, v10
	v_cvt_f32_u32_e32 v10, v9
	s_delay_alu instid0(VALU_DEP_3) | instskip(NEXT) | instid1(VALU_DEP_3)
	v_sub_nc_u32_e32 v13, v12, v13
	v_xor_b32_e32 v9, 0x7fffffff, v15
	v_dual_sub_nc_u32 v16, 0, v15 :: v_dual_add_nc_u32 v12, -1, v12
	s_delay_alu instid0(VALU_DEP_3) | instskip(NEXT) | instid1(VALU_DEP_2)
	v_mul_lo_u32 v13, 0xbc8f, v13
	v_cvt_f32_u32_e32 v12, v12
	s_delay_alu instid0(VALU_DEP_2) | instskip(NEXT) | instid1(VALU_DEP_4)
	v_cmp_lt_u32_e32 vcc_lo, v13, v15
	v_dual_add_nc_u32 v11, -1, v11 :: v_dual_cndmask_b32 v9, v16, v9, vcc_lo
	s_delay_alu instid0(VALU_DEP_1) | instskip(NEXT) | instid1(VALU_DEP_2)
	v_cvt_f32_u32_e32 v11, v11
	v_add_nc_u32_e32 v9, v9, v13
	s_delay_alu instid0(VALU_DEP_2) | instskip(NEXT) | instid1(VALU_DEP_1)
	v_pk_fma_f32 v[10:11], v[10:11], s[6:7], 0 op_sel_hi:[1,0,0]
	v_pk_mul_f32 v[10:11], v[10:11], v[10:11]
	s_delay_alu instid0(VALU_DEP_1) | instskip(NEXT) | instid1(VALU_DEP_1)
	v_dual_add_nc_u32 v13, -1, v9 :: v_dual_add_f32 v15, v10, v11
	v_cvt_f32_u32_e32 v13, v13
	s_delay_alu instid0(VALU_DEP_2) | instskip(NEXT) | instid1(VALU_DEP_2)
	v_cmp_gt_f32_e32 vcc_lo, 0xf800000, v15
	v_pk_fma_f32 v[10:11], v[12:13], s[6:7], 0 op_sel_hi:[1,0,0]
	s_add_co_i32 s7, s7, -2
	s_delay_alu instid0(SALU_CYCLE_1) | instskip(NEXT) | instid1(VALU_DEP_1)
	s_cmp_lg_u32 s7, 0
	v_pk_mul_f32 v[10:11], v[10:11], v[10:11]
	s_delay_alu instid0(VALU_DEP_1) | instskip(NEXT) | instid1(VALU_DEP_1)
	v_add_f32_e32 v10, v10, v11
	v_dual_mul_f32 v12, 0x4f800000, v15 :: v_dual_mul_f32 v13, 0x4f800000, v10
	s_delay_alu instid0(VALU_DEP_1) | instskip(SKIP_1) | instid1(VALU_DEP_2)
	v_cndmask_b32_e32 v12, v15, v12, vcc_lo
	v_cmp_gt_f32_e64 s3, 0xf800000, v10
	v_sqrt_f32_e32 v11, v12
	v_nop
	s_delay_alu instid0(TRANS32_DEP_1) | instskip(NEXT) | instid1(VALU_DEP_1)
	v_dual_add_nc_u32 v15, -1, v11 :: v_dual_cndmask_b32 v10, v10, v13, s3
	v_dual_add_nc_u32 v13, 1, v11 :: v_dual_fma_f32 v16, -v15, v11, v12
	s_delay_alu instid0(VALU_DEP_2) | instskip(NEXT) | instid1(VALU_DEP_1)
	v_sqrt_f32_e32 v17, v10
	v_fma_f32 v18, -v13, v11, v12
	s_delay_alu instid0(VALU_DEP_2)
	v_cmp_ge_f32_e64 s4, 0, v16
	s_delay_alu instid0(TRANS32_DEP_1) | instid1(VALU_DEP_1)
	v_dual_cndmask_b32 v11, v11, v15, s4 :: v_dual_add_nc_u32 v15, -1, v17
	s_delay_alu instid0(VALU_DEP_3) | instskip(NEXT) | instid1(VALU_DEP_1)
	v_cmp_lt_f32_e64 s4, 0, v18
	v_cndmask_b32_e64 v11, v11, v13, s4
	s_delay_alu instid0(VALU_DEP_3) | instskip(NEXT) | instid1(VALU_DEP_1)
	v_dual_add_nc_u32 v13, 1, v17 :: v_dual_fma_f32 v16, -v15, v17, v10
	v_fma_f32 v19, -v13, v17, v10
	s_delay_alu instid0(VALU_DEP_2) | instskip(NEXT) | instid1(VALU_DEP_1)
	v_cmp_ge_f32_e64 s4, 0, v16
	v_cndmask_b32_e64 v15, v17, v15, s4
	v_mul_f32_e32 v18, 0x37800000, v11
	s_delay_alu instid0(VALU_DEP_4) | instskip(NEXT) | instid1(VALU_DEP_1)
	v_cmp_lt_f32_e64 s4, 0, v19
	v_cndmask_b32_e64 v13, v15, v13, s4
	s_delay_alu instid0(VALU_DEP_3) | instskip(SKIP_1) | instid1(VALU_DEP_2)
	v_cndmask_b32_e32 v11, v11, v18, vcc_lo
	v_cmp_class_f32_e64 vcc_lo, v12, 0x260
	v_dual_cndmask_b32 v11, v11, v12 :: v_dual_mul_f32 v12, 0x37800000, v13
	s_delay_alu instid0(VALU_DEP_1) | instskip(NEXT) | instid1(VALU_DEP_2)
	v_cmp_nge_f32_e32 vcc_lo, 1.0, v11
	v_dual_cndmask_b32 v11, v13, v12, s3 :: v_dual_cndmask_b32 v1, v14, v1, vcc_lo
	v_cmp_class_f32_e64 vcc_lo, v10, 0x260
	s_delay_alu instid0(VALU_DEP_1) | instskip(NEXT) | instid1(VALU_DEP_1)
	v_dual_add_f32 v12, 1.0, v1 :: v_dual_cndmask_b32 v10, v11, v10, vcc_lo
	v_cmp_nge_f32_e32 vcc_lo, 1.0, v10
	s_delay_alu instid0(VALU_DEP_2)
	v_cndmask_b32_e32 v1, v12, v1, vcc_lo
	s_cbranch_scc1 .LBB27_358
; %bb.359:
	s_delay_alu instid0(VALU_DEP_1) | instskip(NEXT) | instid1(VALU_DEP_1)
	v_mul_f32_e32 v1, 4.0, v1
	v_div_scale_f32 v9, null, 0x461c4000, 0x461c4000, v1
	s_delay_alu instid0(VALU_DEP_1) | instskip(SKIP_1) | instid1(TRANS32_DEP_1)
	v_rcp_f32_e32 v10, v9
	v_nop
	v_fma_f32 v11, -v9, v10, 1.0
	s_delay_alu instid0(VALU_DEP_1) | instskip(SKIP_1) | instid1(VALU_DEP_1)
	v_fmac_f32_e32 v10, v11, v10
	v_div_scale_f32 v11, vcc_lo, v1, 0x461c4000, v1
	v_mul_f32_e32 v12, v11, v10
	s_delay_alu instid0(VALU_DEP_1) | instskip(NEXT) | instid1(VALU_DEP_1)
	v_fma_f32 v13, -v9, v12, v11
	v_fmac_f32_e32 v12, v13, v10
	s_delay_alu instid0(VALU_DEP_1) | instskip(NEXT) | instid1(VALU_DEP_1)
	v_fma_f32 v9, -v9, v12, v11
	v_div_fmas_f32 v9, v9, v10, v12
	s_delay_alu instid0(VALU_DEP_1)
	v_div_fixup_f32 v1, v9, 0x461c4000, v1
.LBB27_360:
	s_or_b32 exec_lo, exec_lo, s5
	v_or_b32_e32 v9, 0x200, v0
	s_delay_alu instid0(VALU_DEP_1)
	v_cmp_gt_u32_e64 s3, s13, v9
	s_and_saveexec_b32 s7, s3
	s_cbranch_execz .LBB27_364
; %bb.361:
	v_add_nc_u32_e32 v4, s11, v9
	s_movk_i32 s8, 0x2710
	s_brev_b32 s6, 12
	s_delay_alu instid0(VALU_DEP_1) | instskip(NEXT) | instid1(VALU_DEP_1)
	v_lshlrev_b32_e32 v9, 12, v4
	v_add3_u32 v4, v4, v9, 0x7ed55d16
	s_delay_alu instid0(VALU_DEP_1) | instskip(NEXT) | instid1(VALU_DEP_1)
	v_lshrrev_b32_e32 v9, 19, v4
	v_xor3_b32 v4, v4, v9, 0xc761c23c
	s_delay_alu instid0(VALU_DEP_1) | instskip(NEXT) | instid1(VALU_DEP_1)
	v_lshl_add_u32 v4, v4, 5, v4
	v_add_nc_u32_e32 v9, 0xe9f8cc1d, v4
	v_lshl_add_u32 v4, v4, 9, 0xaccf6200
	s_delay_alu instid0(VALU_DEP_1) | instskip(NEXT) | instid1(VALU_DEP_1)
	v_xor_b32_e32 v4, v9, v4
	v_lshlrev_b32_e32 v9, 3, v4
	s_delay_alu instid0(VALU_DEP_1) | instskip(NEXT) | instid1(VALU_DEP_1)
	v_add3_u32 v4, v4, v9, 0xfd7046c5
	v_lshrrev_b32_e32 v9, 16, v4
	s_delay_alu instid0(VALU_DEP_1) | instskip(NEXT) | instid1(VALU_DEP_1)
	v_xor3_b32 v4, v4, v9, 0xb55a4f09
	v_mul_hi_u32 v9, v4, 3
	s_delay_alu instid0(VALU_DEP_1) | instskip(NEXT) | instid1(VALU_DEP_1)
	v_sub_nc_u32_e32 v10, v4, v9
	v_lshrrev_b32_e32 v10, 1, v10
	s_delay_alu instid0(VALU_DEP_1) | instskip(NEXT) | instid1(VALU_DEP_1)
	v_add_nc_u32_e32 v9, v10, v9
	v_lshrrev_b32_e32 v9, 30, v9
	s_delay_alu instid0(VALU_DEP_1) | instskip(NEXT) | instid1(VALU_DEP_1)
	v_mul_lo_u32 v9, 0x7fffffff, v9
	v_sub_nc_u32_e32 v4, v4, v9
	s_delay_alu instid0(VALU_DEP_1)
	v_max_u32_e32 v9, 1, v4
	v_mov_b32_e32 v4, 0
.LBB27_362:                             ; =>This Inner Loop Header: Depth=1
	s_delay_alu instid0(VALU_DEP_2) | instskip(SKIP_1) | instid1(SALU_CYCLE_1)
	v_mul_hi_u32 v10, 0xbc8f1391, v9
	s_add_co_i32 s8, s8, -2
	s_cmp_lg_u32 s8, 0
	s_delay_alu instid0(VALU_DEP_1) | instskip(NEXT) | instid1(VALU_DEP_1)
	v_lshrrev_b32_e32 v10, 15, v10
	v_mul_u32_u24_e32 v11, 0xadc8, v10
	s_delay_alu instid0(VALU_DEP_1) | instskip(SKIP_1) | instid1(VALU_DEP_2)
	v_sub_nc_u32_e32 v9, v9, v11
	v_mul_u32_u24_e32 v10, 0xd47, v10
	v_mul_lo_u32 v9, 0xbc8f, v9
	s_delay_alu instid0(VALU_DEP_2) | instskip(SKIP_1) | instid1(VALU_DEP_3)
	v_xor_b32_e32 v11, 0x7fffffff, v10
	v_sub_nc_u32_e32 v12, 0, v10
	v_cmp_lt_u32_e32 vcc_lo, v9, v10
	s_delay_alu instid0(VALU_DEP_2) | instskip(NEXT) | instid1(VALU_DEP_1)
	v_cndmask_b32_e32 v10, v12, v11, vcc_lo
	v_add_nc_u32_e32 v9, v10, v9
	s_delay_alu instid0(VALU_DEP_1) | instskip(NEXT) | instid1(VALU_DEP_1)
	v_mul_hi_u32 v10, 0xbc8f1391, v9
	v_lshrrev_b32_e32 v10, 15, v10
	s_delay_alu instid0(VALU_DEP_1) | instskip(SKIP_1) | instid1(VALU_DEP_2)
	v_mul_u32_u24_e32 v11, 0xadc8, v10
	v_mul_u32_u24_e32 v10, 0xd47, v10
	v_sub_nc_u32_e32 v11, v9, v11
	s_delay_alu instid0(VALU_DEP_2) | instskip(SKIP_1) | instid1(VALU_DEP_3)
	v_xor_b32_e32 v12, 0x7fffffff, v10
	v_add_nc_u32_e32 v9, -1, v9
	v_mul_lo_u32 v11, 0xbc8f, v11
	v_sub_nc_u32_e32 v13, 0, v10
	s_delay_alu instid0(VALU_DEP_2) | instskip(NEXT) | instid1(VALU_DEP_2)
	v_cmp_lt_u32_e32 vcc_lo, v11, v10
	v_cndmask_b32_e32 v10, v13, v12, vcc_lo
	s_delay_alu instid0(VALU_DEP_1) | instskip(NEXT) | instid1(VALU_DEP_1)
	v_add_nc_u32_e32 v11, v10, v11
	v_mul_hi_u32 v10, 0xbc8f1391, v11
	s_delay_alu instid0(VALU_DEP_1) | instskip(NEXT) | instid1(VALU_DEP_1)
	v_lshrrev_b32_e32 v10, 15, v10
	v_mul_u32_u24_e32 v12, 0xadc8, v10
	v_mul_u32_u24_e32 v10, 0xd47, v10
	s_delay_alu instid0(VALU_DEP_2) | instskip(NEXT) | instid1(VALU_DEP_2)
	v_sub_nc_u32_e32 v12, v11, v12
	v_xor_b32_e32 v13, 0x7fffffff, v10
	s_delay_alu instid0(VALU_DEP_2) | instskip(SKIP_1) | instid1(VALU_DEP_2)
	v_mul_lo_u32 v12, 0xbc8f, v12
	v_sub_nc_u32_e32 v14, 0, v10
	v_cmp_lt_u32_e32 vcc_lo, v12, v10
	s_delay_alu instid0(VALU_DEP_2) | instskip(NEXT) | instid1(VALU_DEP_1)
	v_dual_cndmask_b32 v10, v14, v13, vcc_lo :: v_dual_add_f32 v14, 1.0, v4
	v_add_nc_u32_e32 v12, v10, v12
	s_delay_alu instid0(VALU_DEP_1) | instskip(NEXT) | instid1(VALU_DEP_1)
	v_mul_hi_u32 v10, 0xbc8f1391, v12
	v_lshrrev_b32_e32 v10, 15, v10
	s_delay_alu instid0(VALU_DEP_1) | instskip(SKIP_2) | instid1(VALU_DEP_3)
	v_mul_u32_u24_e32 v13, 0xadc8, v10
	v_mul_u32_u24_e32 v15, 0xd47, v10
	v_cvt_f32_u32_e32 v10, v9
	v_sub_nc_u32_e32 v13, v12, v13
	s_delay_alu instid0(VALU_DEP_3) | instskip(SKIP_1) | instid1(VALU_DEP_3)
	v_xor_b32_e32 v9, 0x7fffffff, v15
	v_dual_sub_nc_u32 v16, 0, v15 :: v_dual_add_nc_u32 v12, -1, v12
	v_mul_lo_u32 v13, 0xbc8f, v13
	s_delay_alu instid0(VALU_DEP_2) | instskip(NEXT) | instid1(VALU_DEP_2)
	v_cvt_f32_u32_e32 v12, v12
	v_cmp_lt_u32_e32 vcc_lo, v13, v15
	s_delay_alu instid0(VALU_DEP_4) | instskip(NEXT) | instid1(VALU_DEP_1)
	v_dual_add_nc_u32 v11, -1, v11 :: v_dual_cndmask_b32 v9, v16, v9, vcc_lo
	v_cvt_f32_u32_e32 v11, v11
	s_delay_alu instid0(VALU_DEP_2) | instskip(NEXT) | instid1(VALU_DEP_2)
	v_add_nc_u32_e32 v9, v9, v13
	v_pk_fma_f32 v[10:11], v[10:11], s[6:7], 0 op_sel_hi:[1,0,0]
	s_delay_alu instid0(VALU_DEP_1) | instskip(NEXT) | instid1(VALU_DEP_1)
	v_pk_mul_f32 v[10:11], v[10:11], v[10:11]
	v_dual_add_nc_u32 v13, -1, v9 :: v_dual_add_f32 v15, v10, v11
	s_delay_alu instid0(VALU_DEP_1) | instskip(NEXT) | instid1(VALU_DEP_2)
	v_cvt_f32_u32_e32 v13, v13
	v_cmp_gt_f32_e32 vcc_lo, 0xf800000, v15
	s_delay_alu instid0(VALU_DEP_2) | instskip(NEXT) | instid1(VALU_DEP_1)
	v_pk_fma_f32 v[10:11], v[12:13], s[6:7], 0 op_sel_hi:[1,0,0]
	v_pk_mul_f32 v[10:11], v[10:11], v[10:11]
	s_delay_alu instid0(VALU_DEP_1) | instskip(NEXT) | instid1(VALU_DEP_1)
	v_add_f32_e32 v10, v10, v11
	v_dual_mul_f32 v12, 0x4f800000, v15 :: v_dual_mul_f32 v13, 0x4f800000, v10
	s_delay_alu instid0(VALU_DEP_1) | instskip(SKIP_1) | instid1(VALU_DEP_2)
	v_cndmask_b32_e32 v12, v15, v12, vcc_lo
	v_cmp_gt_f32_e64 s4, 0xf800000, v10
	v_sqrt_f32_e32 v11, v12
	v_nop
	s_delay_alu instid0(TRANS32_DEP_1) | instskip(NEXT) | instid1(VALU_DEP_1)
	v_dual_add_nc_u32 v15, -1, v11 :: v_dual_cndmask_b32 v10, v10, v13, s4
	v_dual_add_nc_u32 v13, 1, v11 :: v_dual_fma_f32 v16, -v15, v11, v12
	s_delay_alu instid0(VALU_DEP_2) | instskip(NEXT) | instid1(VALU_DEP_1)
	v_sqrt_f32_e32 v17, v10
	v_fma_f32 v18, -v13, v11, v12
	s_delay_alu instid0(VALU_DEP_2)
	v_cmp_ge_f32_e64 s5, 0, v16
	s_delay_alu instid0(TRANS32_DEP_1) | instid1(VALU_DEP_1)
	v_dual_cndmask_b32 v11, v11, v15, s5 :: v_dual_add_nc_u32 v15, -1, v17
	s_delay_alu instid0(VALU_DEP_3) | instskip(NEXT) | instid1(VALU_DEP_1)
	v_cmp_lt_f32_e64 s5, 0, v18
	v_cndmask_b32_e64 v11, v11, v13, s5
	s_delay_alu instid0(VALU_DEP_3) | instskip(NEXT) | instid1(VALU_DEP_1)
	v_dual_add_nc_u32 v13, 1, v17 :: v_dual_fma_f32 v16, -v15, v17, v10
	v_fma_f32 v19, -v13, v17, v10
	s_delay_alu instid0(VALU_DEP_2) | instskip(NEXT) | instid1(VALU_DEP_1)
	v_cmp_ge_f32_e64 s5, 0, v16
	v_cndmask_b32_e64 v15, v17, v15, s5
	v_mul_f32_e32 v18, 0x37800000, v11
	s_delay_alu instid0(VALU_DEP_4) | instskip(NEXT) | instid1(VALU_DEP_1)
	v_cmp_lt_f32_e64 s5, 0, v19
	v_cndmask_b32_e64 v13, v15, v13, s5
	s_delay_alu instid0(VALU_DEP_3) | instskip(SKIP_1) | instid1(VALU_DEP_2)
	v_cndmask_b32_e32 v11, v11, v18, vcc_lo
	v_cmp_class_f32_e64 vcc_lo, v12, 0x260
	v_cndmask_b32_e32 v11, v11, v12, vcc_lo
	s_delay_alu instid0(VALU_DEP_1) | instskip(SKIP_3) | instid1(VALU_DEP_2)
	v_cmp_nge_f32_e32 vcc_lo, 1.0, v11
	v_cndmask_b32_e32 v4, v14, v4, vcc_lo
	v_mul_f32_e32 v12, 0x37800000, v13
	v_cmp_class_f32_e64 vcc_lo, v10, 0x260
	v_cndmask_b32_e64 v11, v13, v12, s4
	s_delay_alu instid0(VALU_DEP_1) | instskip(NEXT) | instid1(VALU_DEP_1)
	v_dual_add_f32 v12, 1.0, v4 :: v_dual_cndmask_b32 v10, v11, v10, vcc_lo
	v_cmp_nge_f32_e32 vcc_lo, 1.0, v10
	s_delay_alu instid0(VALU_DEP_2)
	v_cndmask_b32_e32 v4, v12, v4, vcc_lo
	s_cbranch_scc1 .LBB27_362
; %bb.363:
	s_delay_alu instid0(VALU_DEP_1) | instskip(NEXT) | instid1(VALU_DEP_1)
	v_mul_f32_e32 v4, 4.0, v4
	v_div_scale_f32 v9, null, 0x461c4000, 0x461c4000, v4
	s_delay_alu instid0(VALU_DEP_1) | instskip(SKIP_1) | instid1(TRANS32_DEP_1)
	v_rcp_f32_e32 v10, v9
	v_nop
	v_fma_f32 v11, -v9, v10, 1.0
	s_delay_alu instid0(VALU_DEP_1) | instskip(SKIP_1) | instid1(VALU_DEP_1)
	v_fmac_f32_e32 v10, v11, v10
	v_div_scale_f32 v11, vcc_lo, v4, 0x461c4000, v4
	v_mul_f32_e32 v12, v11, v10
	s_delay_alu instid0(VALU_DEP_1) | instskip(NEXT) | instid1(VALU_DEP_1)
	v_fma_f32 v13, -v9, v12, v11
	v_fmac_f32_e32 v12, v13, v10
	s_delay_alu instid0(VALU_DEP_1) | instskip(NEXT) | instid1(VALU_DEP_1)
	v_fma_f32 v9, -v9, v12, v11
	v_div_fmas_f32 v9, v9, v10, v12
	s_delay_alu instid0(VALU_DEP_1)
	v_div_fixup_f32 v4, v9, 0x461c4000, v4
.LBB27_364:
	s_or_b32 exec_lo, exec_lo, s7
	v_or_b32_e32 v9, 0x300, v0
	s_delay_alu instid0(VALU_DEP_1)
	v_cmp_gt_u32_e64 s4, s13, v9
	s_and_saveexec_b32 s7, s4
	s_cbranch_execz .LBB27_368
; %bb.365:
	v_add_nc_u32_e32 v3, s11, v9
	s_movk_i32 s9, 0x2710
	s_brev_b32 s8, 12
	s_delay_alu instid0(VALU_DEP_1) | instskip(NEXT) | instid1(VALU_DEP_1)
	v_lshlrev_b32_e32 v9, 12, v3
	v_add3_u32 v3, v3, v9, 0x7ed55d16
	s_delay_alu instid0(VALU_DEP_1) | instskip(NEXT) | instid1(VALU_DEP_1)
	v_lshrrev_b32_e32 v9, 19, v3
	v_xor3_b32 v3, v3, v9, 0xc761c23c
	s_delay_alu instid0(VALU_DEP_1) | instskip(NEXT) | instid1(VALU_DEP_1)
	v_lshl_add_u32 v3, v3, 5, v3
	v_add_nc_u32_e32 v9, 0xe9f8cc1d, v3
	v_lshl_add_u32 v3, v3, 9, 0xaccf6200
	s_delay_alu instid0(VALU_DEP_1) | instskip(NEXT) | instid1(VALU_DEP_1)
	v_xor_b32_e32 v3, v9, v3
	v_lshlrev_b32_e32 v9, 3, v3
	s_delay_alu instid0(VALU_DEP_1) | instskip(NEXT) | instid1(VALU_DEP_1)
	v_add3_u32 v3, v3, v9, 0xfd7046c5
	v_lshrrev_b32_e32 v9, 16, v3
	s_delay_alu instid0(VALU_DEP_1) | instskip(NEXT) | instid1(VALU_DEP_1)
	v_xor3_b32 v3, v3, v9, 0xb55a4f09
	v_mul_hi_u32 v9, v3, 3
	s_delay_alu instid0(VALU_DEP_1) | instskip(NEXT) | instid1(VALU_DEP_1)
	v_sub_nc_u32_e32 v10, v3, v9
	v_lshrrev_b32_e32 v10, 1, v10
	s_delay_alu instid0(VALU_DEP_1) | instskip(NEXT) | instid1(VALU_DEP_1)
	v_add_nc_u32_e32 v9, v10, v9
	v_lshrrev_b32_e32 v9, 30, v9
	s_delay_alu instid0(VALU_DEP_1) | instskip(NEXT) | instid1(VALU_DEP_1)
	v_mul_lo_u32 v9, 0x7fffffff, v9
	v_sub_nc_u32_e32 v3, v3, v9
	s_delay_alu instid0(VALU_DEP_1)
	v_max_u32_e32 v9, 1, v3
	v_mov_b32_e32 v3, 0
.LBB27_366:                             ; =>This Inner Loop Header: Depth=1
	s_delay_alu instid0(VALU_DEP_2) | instskip(NEXT) | instid1(VALU_DEP_1)
	v_mul_hi_u32 v10, 0xbc8f1391, v9
	v_lshrrev_b32_e32 v10, 15, v10
	s_delay_alu instid0(VALU_DEP_1) | instskip(NEXT) | instid1(VALU_DEP_1)
	v_mul_u32_u24_e32 v11, 0xadc8, v10
	v_sub_nc_u32_e32 v9, v9, v11
	v_mul_u32_u24_e32 v10, 0xd47, v10
	s_delay_alu instid0(VALU_DEP_2) | instskip(NEXT) | instid1(VALU_DEP_2)
	v_mul_lo_u32 v9, 0xbc8f, v9
	v_xor_b32_e32 v11, 0x7fffffff, v10
	v_sub_nc_u32_e32 v12, 0, v10
	s_delay_alu instid0(VALU_DEP_3) | instskip(NEXT) | instid1(VALU_DEP_2)
	v_cmp_lt_u32_e32 vcc_lo, v9, v10
	v_cndmask_b32_e32 v10, v12, v11, vcc_lo
	s_delay_alu instid0(VALU_DEP_1) | instskip(NEXT) | instid1(VALU_DEP_1)
	v_add_nc_u32_e32 v9, v10, v9
	v_mul_hi_u32 v10, 0xbc8f1391, v9
	s_delay_alu instid0(VALU_DEP_1) | instskip(NEXT) | instid1(VALU_DEP_1)
	v_lshrrev_b32_e32 v10, 15, v10
	v_mul_u32_u24_e32 v11, 0xadc8, v10
	v_mul_u32_u24_e32 v10, 0xd47, v10
	s_delay_alu instid0(VALU_DEP_2) | instskip(NEXT) | instid1(VALU_DEP_2)
	v_sub_nc_u32_e32 v11, v9, v11
	v_xor_b32_e32 v12, 0x7fffffff, v10
	v_add_nc_u32_e32 v9, -1, v9
	s_delay_alu instid0(VALU_DEP_3) | instskip(SKIP_1) | instid1(VALU_DEP_2)
	v_mul_lo_u32 v11, 0xbc8f, v11
	v_sub_nc_u32_e32 v13, 0, v10
	v_cmp_lt_u32_e32 vcc_lo, v11, v10
	s_delay_alu instid0(VALU_DEP_2) | instskip(NEXT) | instid1(VALU_DEP_1)
	v_cndmask_b32_e32 v10, v13, v12, vcc_lo
	v_add_nc_u32_e32 v11, v10, v11
	s_delay_alu instid0(VALU_DEP_1) | instskip(NEXT) | instid1(VALU_DEP_1)
	v_mul_hi_u32 v10, 0xbc8f1391, v11
	v_lshrrev_b32_e32 v10, 15, v10
	s_delay_alu instid0(VALU_DEP_1) | instskip(SKIP_1) | instid1(VALU_DEP_2)
	v_mul_u32_u24_e32 v12, 0xadc8, v10
	v_mul_u32_u24_e32 v10, 0xd47, v10
	v_sub_nc_u32_e32 v12, v11, v12
	s_delay_alu instid0(VALU_DEP_2) | instskip(NEXT) | instid1(VALU_DEP_2)
	v_xor_b32_e32 v13, 0x7fffffff, v10
	v_mul_lo_u32 v12, 0xbc8f, v12
	v_sub_nc_u32_e32 v14, 0, v10
	s_delay_alu instid0(VALU_DEP_2) | instskip(NEXT) | instid1(VALU_DEP_2)
	v_cmp_lt_u32_e32 vcc_lo, v12, v10
	v_dual_cndmask_b32 v10, v14, v13, vcc_lo :: v_dual_add_f32 v14, 1.0, v3
	s_delay_alu instid0(VALU_DEP_1) | instskip(NEXT) | instid1(VALU_DEP_1)
	v_add_nc_u32_e32 v12, v10, v12
	v_mul_hi_u32 v10, 0xbc8f1391, v12
	s_delay_alu instid0(VALU_DEP_1) | instskip(NEXT) | instid1(VALU_DEP_1)
	v_lshrrev_b32_e32 v10, 15, v10
	v_mul_u32_u24_e32 v13, 0xadc8, v10
	v_mul_u32_u24_e32 v15, 0xd47, v10
	v_cvt_f32_u32_e32 v10, v9
	s_delay_alu instid0(VALU_DEP_3) | instskip(NEXT) | instid1(VALU_DEP_3)
	v_sub_nc_u32_e32 v13, v12, v13
	v_xor_b32_e32 v9, 0x7fffffff, v15
	v_dual_sub_nc_u32 v16, 0, v15 :: v_dual_add_nc_u32 v12, -1, v12
	s_delay_alu instid0(VALU_DEP_3) | instskip(NEXT) | instid1(VALU_DEP_2)
	v_mul_lo_u32 v13, 0xbc8f, v13
	v_cvt_f32_u32_e32 v12, v12
	s_delay_alu instid0(VALU_DEP_2) | instskip(NEXT) | instid1(VALU_DEP_4)
	v_cmp_lt_u32_e32 vcc_lo, v13, v15
	v_dual_add_nc_u32 v11, -1, v11 :: v_dual_cndmask_b32 v9, v16, v9, vcc_lo
	s_delay_alu instid0(VALU_DEP_1) | instskip(NEXT) | instid1(VALU_DEP_2)
	v_cvt_f32_u32_e32 v11, v11
	v_add_nc_u32_e32 v9, v9, v13
	s_delay_alu instid0(VALU_DEP_2) | instskip(NEXT) | instid1(VALU_DEP_1)
	v_pk_fma_f32 v[10:11], v[10:11], s[8:9], 0 op_sel_hi:[1,0,0]
	v_pk_mul_f32 v[10:11], v[10:11], v[10:11]
	s_delay_alu instid0(VALU_DEP_1) | instskip(NEXT) | instid1(VALU_DEP_1)
	v_dual_add_nc_u32 v13, -1, v9 :: v_dual_add_f32 v15, v10, v11
	v_cvt_f32_u32_e32 v13, v13
	s_delay_alu instid0(VALU_DEP_2) | instskip(NEXT) | instid1(VALU_DEP_2)
	v_cmp_gt_f32_e32 vcc_lo, 0xf800000, v15
	v_pk_fma_f32 v[10:11], v[12:13], s[8:9], 0 op_sel_hi:[1,0,0]
	s_add_co_i32 s9, s9, -2
	s_delay_alu instid0(SALU_CYCLE_1) | instskip(NEXT) | instid1(VALU_DEP_1)
	s_cmp_lg_u32 s9, 0
	v_pk_mul_f32 v[10:11], v[10:11], v[10:11]
	s_delay_alu instid0(VALU_DEP_1) | instskip(NEXT) | instid1(VALU_DEP_1)
	v_add_f32_e32 v10, v10, v11
	v_dual_mul_f32 v12, 0x4f800000, v15 :: v_dual_mul_f32 v13, 0x4f800000, v10
	s_delay_alu instid0(VALU_DEP_1) | instskip(SKIP_1) | instid1(VALU_DEP_2)
	v_cndmask_b32_e32 v12, v15, v12, vcc_lo
	v_cmp_gt_f32_e64 s5, 0xf800000, v10
	v_sqrt_f32_e32 v11, v12
	v_nop
	s_delay_alu instid0(TRANS32_DEP_1) | instskip(NEXT) | instid1(VALU_DEP_1)
	v_dual_add_nc_u32 v15, -1, v11 :: v_dual_cndmask_b32 v10, v10, v13, s5
	v_dual_add_nc_u32 v13, 1, v11 :: v_dual_fma_f32 v16, -v15, v11, v12
	s_delay_alu instid0(VALU_DEP_2) | instskip(NEXT) | instid1(VALU_DEP_1)
	v_sqrt_f32_e32 v17, v10
	v_fma_f32 v18, -v13, v11, v12
	s_delay_alu instid0(VALU_DEP_2)
	v_cmp_ge_f32_e64 s6, 0, v16
	s_delay_alu instid0(TRANS32_DEP_1) | instid1(VALU_DEP_1)
	v_dual_cndmask_b32 v11, v11, v15, s6 :: v_dual_add_nc_u32 v15, -1, v17
	s_delay_alu instid0(VALU_DEP_3) | instskip(NEXT) | instid1(VALU_DEP_1)
	v_cmp_lt_f32_e64 s6, 0, v18
	v_cndmask_b32_e64 v11, v11, v13, s6
	s_delay_alu instid0(VALU_DEP_3) | instskip(NEXT) | instid1(VALU_DEP_1)
	v_dual_add_nc_u32 v13, 1, v17 :: v_dual_fma_f32 v16, -v15, v17, v10
	v_fma_f32 v19, -v13, v17, v10
	s_delay_alu instid0(VALU_DEP_2) | instskip(NEXT) | instid1(VALU_DEP_1)
	v_cmp_ge_f32_e64 s6, 0, v16
	v_cndmask_b32_e64 v15, v17, v15, s6
	v_mul_f32_e32 v18, 0x37800000, v11
	s_delay_alu instid0(VALU_DEP_4) | instskip(NEXT) | instid1(VALU_DEP_1)
	v_cmp_lt_f32_e64 s6, 0, v19
	v_cndmask_b32_e64 v13, v15, v13, s6
	s_delay_alu instid0(VALU_DEP_3) | instskip(SKIP_1) | instid1(VALU_DEP_2)
	v_cndmask_b32_e32 v11, v11, v18, vcc_lo
	v_cmp_class_f32_e64 vcc_lo, v12, 0x260
	v_cndmask_b32_e32 v11, v11, v12, vcc_lo
	s_delay_alu instid0(VALU_DEP_1) | instskip(SKIP_2) | instid1(VALU_DEP_2)
	v_cmp_nge_f32_e32 vcc_lo, 1.0, v11
	v_dual_cndmask_b32 v3, v14, v3 :: v_dual_mul_f32 v12, 0x37800000, v13
	v_cmp_class_f32_e64 vcc_lo, v10, 0x260
	v_dual_cndmask_b32 v11, v13, v12, s5 :: v_dual_add_f32 v12, 1.0, v3
	s_delay_alu instid0(VALU_DEP_1) | instskip(NEXT) | instid1(VALU_DEP_1)
	v_cndmask_b32_e32 v10, v11, v10, vcc_lo
	v_cmp_nge_f32_e32 vcc_lo, 1.0, v10
	s_delay_alu instid0(VALU_DEP_3)
	v_cndmask_b32_e32 v3, v12, v3, vcc_lo
	s_cbranch_scc1 .LBB27_366
; %bb.367:
	s_delay_alu instid0(VALU_DEP_1) | instskip(NEXT) | instid1(VALU_DEP_1)
	v_mul_f32_e32 v3, 4.0, v3
	v_div_scale_f32 v9, null, 0x461c4000, 0x461c4000, v3
	s_delay_alu instid0(VALU_DEP_1) | instskip(SKIP_1) | instid1(TRANS32_DEP_1)
	v_rcp_f32_e32 v10, v9
	v_nop
	v_fma_f32 v11, -v9, v10, 1.0
	s_delay_alu instid0(VALU_DEP_1) | instskip(SKIP_1) | instid1(VALU_DEP_1)
	v_fmac_f32_e32 v10, v11, v10
	v_div_scale_f32 v11, vcc_lo, v3, 0x461c4000, v3
	v_mul_f32_e32 v12, v11, v10
	s_delay_alu instid0(VALU_DEP_1) | instskip(NEXT) | instid1(VALU_DEP_1)
	v_fma_f32 v13, -v9, v12, v11
	v_fmac_f32_e32 v12, v13, v10
	s_delay_alu instid0(VALU_DEP_1) | instskip(NEXT) | instid1(VALU_DEP_1)
	v_fma_f32 v9, -v9, v12, v11
	v_div_fmas_f32 v9, v9, v10, v12
	s_delay_alu instid0(VALU_DEP_1)
	v_div_fixup_f32 v3, v9, 0x461c4000, v3
.LBB27_368:
	s_or_b32 exec_lo, exec_lo, s7
	v_or_b32_e32 v9, 0x400, v0
	s_delay_alu instid0(VALU_DEP_1)
	v_cmp_gt_u32_e64 s5, s13, v9
	s_and_saveexec_b32 s9, s5
	s_cbranch_execz .LBB27_372
; %bb.369:
	v_add_nc_u32_e32 v6, s11, v9
	s_movk_i32 s10, 0x2710
	s_brev_b32 s8, 12
	s_delay_alu instid0(VALU_DEP_1) | instskip(NEXT) | instid1(VALU_DEP_1)
	v_lshlrev_b32_e32 v9, 12, v6
	v_add3_u32 v6, v6, v9, 0x7ed55d16
	s_delay_alu instid0(VALU_DEP_1) | instskip(NEXT) | instid1(VALU_DEP_1)
	v_lshrrev_b32_e32 v9, 19, v6
	v_xor3_b32 v6, v6, v9, 0xc761c23c
	s_delay_alu instid0(VALU_DEP_1) | instskip(NEXT) | instid1(VALU_DEP_1)
	v_lshl_add_u32 v6, v6, 5, v6
	v_add_nc_u32_e32 v9, 0xe9f8cc1d, v6
	v_lshl_add_u32 v6, v6, 9, 0xaccf6200
	s_delay_alu instid0(VALU_DEP_1) | instskip(NEXT) | instid1(VALU_DEP_1)
	v_xor_b32_e32 v6, v9, v6
	v_lshlrev_b32_e32 v9, 3, v6
	s_delay_alu instid0(VALU_DEP_1) | instskip(NEXT) | instid1(VALU_DEP_1)
	v_add3_u32 v6, v6, v9, 0xfd7046c5
	v_lshrrev_b32_e32 v9, 16, v6
	s_delay_alu instid0(VALU_DEP_1) | instskip(NEXT) | instid1(VALU_DEP_1)
	v_xor3_b32 v6, v6, v9, 0xb55a4f09
	v_mul_hi_u32 v9, v6, 3
	s_delay_alu instid0(VALU_DEP_1) | instskip(NEXT) | instid1(VALU_DEP_1)
	v_sub_nc_u32_e32 v10, v6, v9
	v_lshrrev_b32_e32 v10, 1, v10
	s_delay_alu instid0(VALU_DEP_1) | instskip(NEXT) | instid1(VALU_DEP_1)
	v_add_nc_u32_e32 v9, v10, v9
	v_lshrrev_b32_e32 v9, 30, v9
	s_delay_alu instid0(VALU_DEP_1) | instskip(NEXT) | instid1(VALU_DEP_1)
	v_mul_lo_u32 v9, 0x7fffffff, v9
	v_sub_nc_u32_e32 v6, v6, v9
	s_delay_alu instid0(VALU_DEP_1)
	v_max_u32_e32 v9, 1, v6
	v_mov_b32_e32 v6, 0
.LBB27_370:                             ; =>This Inner Loop Header: Depth=1
	s_delay_alu instid0(VALU_DEP_2) | instskip(SKIP_1) | instid1(SALU_CYCLE_1)
	v_mul_hi_u32 v10, 0xbc8f1391, v9
	s_add_co_i32 s10, s10, -2
	s_cmp_lg_u32 s10, 0
	s_delay_alu instid0(VALU_DEP_1) | instskip(NEXT) | instid1(VALU_DEP_1)
	v_lshrrev_b32_e32 v10, 15, v10
	v_mul_u32_u24_e32 v11, 0xadc8, v10
	s_delay_alu instid0(VALU_DEP_1) | instskip(SKIP_1) | instid1(VALU_DEP_2)
	v_sub_nc_u32_e32 v9, v9, v11
	v_mul_u32_u24_e32 v10, 0xd47, v10
	v_mul_lo_u32 v9, 0xbc8f, v9
	s_delay_alu instid0(VALU_DEP_2) | instskip(SKIP_1) | instid1(VALU_DEP_3)
	v_xor_b32_e32 v11, 0x7fffffff, v10
	v_sub_nc_u32_e32 v12, 0, v10
	v_cmp_lt_u32_e32 vcc_lo, v9, v10
	s_delay_alu instid0(VALU_DEP_2) | instskip(NEXT) | instid1(VALU_DEP_1)
	v_cndmask_b32_e32 v10, v12, v11, vcc_lo
	v_add_nc_u32_e32 v9, v10, v9
	s_delay_alu instid0(VALU_DEP_1) | instskip(NEXT) | instid1(VALU_DEP_1)
	v_mul_hi_u32 v10, 0xbc8f1391, v9
	v_lshrrev_b32_e32 v10, 15, v10
	s_delay_alu instid0(VALU_DEP_1) | instskip(SKIP_1) | instid1(VALU_DEP_2)
	v_mul_u32_u24_e32 v11, 0xadc8, v10
	v_mul_u32_u24_e32 v10, 0xd47, v10
	v_sub_nc_u32_e32 v11, v9, v11
	s_delay_alu instid0(VALU_DEP_2) | instskip(SKIP_1) | instid1(VALU_DEP_3)
	v_xor_b32_e32 v12, 0x7fffffff, v10
	v_add_nc_u32_e32 v9, -1, v9
	v_mul_lo_u32 v11, 0xbc8f, v11
	v_sub_nc_u32_e32 v13, 0, v10
	s_delay_alu instid0(VALU_DEP_2) | instskip(NEXT) | instid1(VALU_DEP_2)
	v_cmp_lt_u32_e32 vcc_lo, v11, v10
	v_cndmask_b32_e32 v10, v13, v12, vcc_lo
	s_delay_alu instid0(VALU_DEP_1) | instskip(NEXT) | instid1(VALU_DEP_1)
	v_add_nc_u32_e32 v11, v10, v11
	v_mul_hi_u32 v10, 0xbc8f1391, v11
	s_delay_alu instid0(VALU_DEP_1) | instskip(NEXT) | instid1(VALU_DEP_1)
	v_lshrrev_b32_e32 v10, 15, v10
	v_mul_u32_u24_e32 v12, 0xadc8, v10
	v_mul_u32_u24_e32 v10, 0xd47, v10
	s_delay_alu instid0(VALU_DEP_2) | instskip(NEXT) | instid1(VALU_DEP_2)
	v_sub_nc_u32_e32 v12, v11, v12
	v_xor_b32_e32 v13, 0x7fffffff, v10
	s_delay_alu instid0(VALU_DEP_2) | instskip(SKIP_1) | instid1(VALU_DEP_2)
	v_mul_lo_u32 v12, 0xbc8f, v12
	v_sub_nc_u32_e32 v14, 0, v10
	v_cmp_lt_u32_e32 vcc_lo, v12, v10
	s_delay_alu instid0(VALU_DEP_2) | instskip(NEXT) | instid1(VALU_DEP_1)
	v_dual_cndmask_b32 v10, v14, v13, vcc_lo :: v_dual_add_f32 v14, 1.0, v6
	v_add_nc_u32_e32 v12, v10, v12
	s_delay_alu instid0(VALU_DEP_1) | instskip(NEXT) | instid1(VALU_DEP_1)
	v_mul_hi_u32 v10, 0xbc8f1391, v12
	v_lshrrev_b32_e32 v10, 15, v10
	s_delay_alu instid0(VALU_DEP_1) | instskip(SKIP_2) | instid1(VALU_DEP_3)
	v_mul_u32_u24_e32 v13, 0xadc8, v10
	v_mul_u32_u24_e32 v15, 0xd47, v10
	v_cvt_f32_u32_e32 v10, v9
	v_sub_nc_u32_e32 v13, v12, v13
	s_delay_alu instid0(VALU_DEP_3) | instskip(SKIP_1) | instid1(VALU_DEP_3)
	v_xor_b32_e32 v9, 0x7fffffff, v15
	v_dual_sub_nc_u32 v16, 0, v15 :: v_dual_add_nc_u32 v12, -1, v12
	v_mul_lo_u32 v13, 0xbc8f, v13
	s_delay_alu instid0(VALU_DEP_2) | instskip(NEXT) | instid1(VALU_DEP_2)
	v_cvt_f32_u32_e32 v12, v12
	v_cmp_lt_u32_e32 vcc_lo, v13, v15
	s_delay_alu instid0(VALU_DEP_4) | instskip(NEXT) | instid1(VALU_DEP_1)
	v_dual_add_nc_u32 v11, -1, v11 :: v_dual_cndmask_b32 v9, v16, v9, vcc_lo
	v_cvt_f32_u32_e32 v11, v11
	s_delay_alu instid0(VALU_DEP_2) | instskip(NEXT) | instid1(VALU_DEP_2)
	v_add_nc_u32_e32 v9, v9, v13
	v_pk_fma_f32 v[10:11], v[10:11], s[8:9], 0 op_sel_hi:[1,0,0]
	s_delay_alu instid0(VALU_DEP_1) | instskip(NEXT) | instid1(VALU_DEP_1)
	v_pk_mul_f32 v[10:11], v[10:11], v[10:11]
	v_dual_add_nc_u32 v13, -1, v9 :: v_dual_add_f32 v15, v10, v11
	s_delay_alu instid0(VALU_DEP_1) | instskip(NEXT) | instid1(VALU_DEP_2)
	v_cvt_f32_u32_e32 v13, v13
	v_cmp_gt_f32_e32 vcc_lo, 0xf800000, v15
	s_delay_alu instid0(VALU_DEP_2) | instskip(NEXT) | instid1(VALU_DEP_1)
	v_pk_fma_f32 v[10:11], v[12:13], s[8:9], 0 op_sel_hi:[1,0,0]
	v_pk_mul_f32 v[10:11], v[10:11], v[10:11]
	s_delay_alu instid0(VALU_DEP_1) | instskip(NEXT) | instid1(VALU_DEP_1)
	v_add_f32_e32 v10, v10, v11
	v_dual_mul_f32 v12, 0x4f800000, v15 :: v_dual_mul_f32 v13, 0x4f800000, v10
	s_delay_alu instid0(VALU_DEP_1) | instskip(SKIP_1) | instid1(VALU_DEP_2)
	v_cndmask_b32_e32 v12, v15, v12, vcc_lo
	v_cmp_gt_f32_e64 s6, 0xf800000, v10
	v_sqrt_f32_e32 v11, v12
	v_nop
	s_delay_alu instid0(TRANS32_DEP_1) | instskip(NEXT) | instid1(VALU_DEP_1)
	v_dual_add_nc_u32 v15, -1, v11 :: v_dual_cndmask_b32 v10, v10, v13, s6
	v_dual_add_nc_u32 v13, 1, v11 :: v_dual_fma_f32 v16, -v15, v11, v12
	s_delay_alu instid0(VALU_DEP_2) | instskip(NEXT) | instid1(VALU_DEP_1)
	v_sqrt_f32_e32 v17, v10
	v_fma_f32 v18, -v13, v11, v12
	s_delay_alu instid0(VALU_DEP_2)
	v_cmp_ge_f32_e64 s7, 0, v16
	s_delay_alu instid0(TRANS32_DEP_1) | instid1(VALU_DEP_1)
	v_dual_cndmask_b32 v11, v11, v15, s7 :: v_dual_add_nc_u32 v15, -1, v17
	s_delay_alu instid0(VALU_DEP_3) | instskip(NEXT) | instid1(VALU_DEP_1)
	v_cmp_lt_f32_e64 s7, 0, v18
	v_cndmask_b32_e64 v11, v11, v13, s7
	s_delay_alu instid0(VALU_DEP_3) | instskip(NEXT) | instid1(VALU_DEP_1)
	v_dual_add_nc_u32 v13, 1, v17 :: v_dual_fma_f32 v16, -v15, v17, v10
	v_fma_f32 v19, -v13, v17, v10
	s_delay_alu instid0(VALU_DEP_2) | instskip(NEXT) | instid1(VALU_DEP_1)
	v_cmp_ge_f32_e64 s7, 0, v16
	v_cndmask_b32_e64 v15, v17, v15, s7
	v_mul_f32_e32 v18, 0x37800000, v11
	s_delay_alu instid0(VALU_DEP_4) | instskip(NEXT) | instid1(VALU_DEP_1)
	v_cmp_lt_f32_e64 s7, 0, v19
	v_cndmask_b32_e64 v13, v15, v13, s7
	s_delay_alu instid0(VALU_DEP_3) | instskip(SKIP_1) | instid1(VALU_DEP_2)
	v_cndmask_b32_e32 v11, v11, v18, vcc_lo
	v_cmp_class_f32_e64 vcc_lo, v12, 0x260
	v_cndmask_b32_e32 v11, v11, v12, vcc_lo
	s_delay_alu instid0(VALU_DEP_1) | instskip(SKIP_3) | instid1(VALU_DEP_2)
	v_cmp_nge_f32_e32 vcc_lo, 1.0, v11
	v_cndmask_b32_e32 v6, v14, v6, vcc_lo
	v_mul_f32_e32 v12, 0x37800000, v13
	v_cmp_class_f32_e64 vcc_lo, v10, 0x260
	v_dual_cndmask_b32 v11, v13, v12, s6 :: v_dual_add_f32 v12, 1.0, v6
	s_delay_alu instid0(VALU_DEP_1) | instskip(NEXT) | instid1(VALU_DEP_1)
	v_cndmask_b32_e32 v10, v11, v10, vcc_lo
	v_cmp_nge_f32_e32 vcc_lo, 1.0, v10
	s_delay_alu instid0(VALU_DEP_3)
	v_cndmask_b32_e32 v6, v12, v6, vcc_lo
	s_cbranch_scc1 .LBB27_370
; %bb.371:
	s_delay_alu instid0(VALU_DEP_1) | instskip(NEXT) | instid1(VALU_DEP_1)
	v_mul_f32_e32 v6, 4.0, v6
	v_div_scale_f32 v9, null, 0x461c4000, 0x461c4000, v6
	s_delay_alu instid0(VALU_DEP_1) | instskip(SKIP_1) | instid1(TRANS32_DEP_1)
	v_rcp_f32_e32 v10, v9
	v_nop
	v_fma_f32 v11, -v9, v10, 1.0
	s_delay_alu instid0(VALU_DEP_1) | instskip(SKIP_1) | instid1(VALU_DEP_1)
	v_fmac_f32_e32 v10, v11, v10
	v_div_scale_f32 v11, vcc_lo, v6, 0x461c4000, v6
	v_mul_f32_e32 v12, v11, v10
	s_delay_alu instid0(VALU_DEP_1) | instskip(NEXT) | instid1(VALU_DEP_1)
	v_fma_f32 v13, -v9, v12, v11
	v_fmac_f32_e32 v12, v13, v10
	s_delay_alu instid0(VALU_DEP_1) | instskip(NEXT) | instid1(VALU_DEP_1)
	v_fma_f32 v9, -v9, v12, v11
	v_div_fmas_f32 v9, v9, v10, v12
	s_delay_alu instid0(VALU_DEP_1)
	v_div_fixup_f32 v6, v9, 0x461c4000, v6
.LBB27_372:
	s_or_b32 exec_lo, exec_lo, s9
	v_or_b32_e32 v9, 0x500, v0
	s_delay_alu instid0(VALU_DEP_1)
	v_cmp_gt_u32_e64 s6, s13, v9
	s_and_saveexec_b32 s9, s6
	s_cbranch_execz .LBB27_376
; %bb.373:
	v_add_nc_u32_e32 v5, s11, v9
	s_movk_i32 s12, 0x2710
	s_brev_b32 s10, 12
	s_delay_alu instid0(VALU_DEP_1) | instskip(NEXT) | instid1(VALU_DEP_1)
	v_lshlrev_b32_e32 v9, 12, v5
	v_add3_u32 v5, v5, v9, 0x7ed55d16
	s_delay_alu instid0(VALU_DEP_1) | instskip(NEXT) | instid1(VALU_DEP_1)
	v_lshrrev_b32_e32 v9, 19, v5
	v_xor3_b32 v5, v5, v9, 0xc761c23c
	s_delay_alu instid0(VALU_DEP_1) | instskip(NEXT) | instid1(VALU_DEP_1)
	v_lshl_add_u32 v5, v5, 5, v5
	v_add_nc_u32_e32 v9, 0xe9f8cc1d, v5
	v_lshl_add_u32 v5, v5, 9, 0xaccf6200
	s_delay_alu instid0(VALU_DEP_1) | instskip(NEXT) | instid1(VALU_DEP_1)
	v_xor_b32_e32 v5, v9, v5
	v_lshlrev_b32_e32 v9, 3, v5
	s_delay_alu instid0(VALU_DEP_1) | instskip(NEXT) | instid1(VALU_DEP_1)
	v_add3_u32 v5, v5, v9, 0xfd7046c5
	v_lshrrev_b32_e32 v9, 16, v5
	s_delay_alu instid0(VALU_DEP_1) | instskip(NEXT) | instid1(VALU_DEP_1)
	v_xor3_b32 v5, v5, v9, 0xb55a4f09
	v_mul_hi_u32 v9, v5, 3
	s_delay_alu instid0(VALU_DEP_1) | instskip(NEXT) | instid1(VALU_DEP_1)
	v_sub_nc_u32_e32 v10, v5, v9
	v_lshrrev_b32_e32 v10, 1, v10
	s_delay_alu instid0(VALU_DEP_1) | instskip(NEXT) | instid1(VALU_DEP_1)
	v_add_nc_u32_e32 v9, v10, v9
	v_lshrrev_b32_e32 v9, 30, v9
	s_delay_alu instid0(VALU_DEP_1) | instskip(NEXT) | instid1(VALU_DEP_1)
	v_mul_lo_u32 v9, 0x7fffffff, v9
	v_sub_nc_u32_e32 v5, v5, v9
	s_delay_alu instid0(VALU_DEP_1)
	v_max_u32_e32 v9, 1, v5
	v_mov_b32_e32 v5, 0
.LBB27_374:                             ; =>This Inner Loop Header: Depth=1
	s_delay_alu instid0(VALU_DEP_2) | instskip(SKIP_1) | instid1(SALU_CYCLE_1)
	v_mul_hi_u32 v10, 0xbc8f1391, v9
	s_add_co_i32 s12, s12, -2
	s_cmp_lg_u32 s12, 0
	s_delay_alu instid0(VALU_DEP_1) | instskip(NEXT) | instid1(VALU_DEP_1)
	v_lshrrev_b32_e32 v10, 15, v10
	v_mul_u32_u24_e32 v11, 0xadc8, v10
	s_delay_alu instid0(VALU_DEP_1) | instskip(SKIP_1) | instid1(VALU_DEP_2)
	v_sub_nc_u32_e32 v9, v9, v11
	v_mul_u32_u24_e32 v10, 0xd47, v10
	v_mul_lo_u32 v9, 0xbc8f, v9
	s_delay_alu instid0(VALU_DEP_2) | instskip(SKIP_1) | instid1(VALU_DEP_3)
	v_xor_b32_e32 v11, 0x7fffffff, v10
	v_sub_nc_u32_e32 v12, 0, v10
	v_cmp_lt_u32_e32 vcc_lo, v9, v10
	s_delay_alu instid0(VALU_DEP_2) | instskip(NEXT) | instid1(VALU_DEP_1)
	v_cndmask_b32_e32 v10, v12, v11, vcc_lo
	v_add_nc_u32_e32 v9, v10, v9
	s_delay_alu instid0(VALU_DEP_1) | instskip(NEXT) | instid1(VALU_DEP_1)
	v_mul_hi_u32 v10, 0xbc8f1391, v9
	v_lshrrev_b32_e32 v10, 15, v10
	s_delay_alu instid0(VALU_DEP_1) | instskip(SKIP_1) | instid1(VALU_DEP_2)
	v_mul_u32_u24_e32 v11, 0xadc8, v10
	v_mul_u32_u24_e32 v10, 0xd47, v10
	v_sub_nc_u32_e32 v11, v9, v11
	s_delay_alu instid0(VALU_DEP_2) | instskip(SKIP_1) | instid1(VALU_DEP_3)
	v_xor_b32_e32 v12, 0x7fffffff, v10
	v_add_nc_u32_e32 v9, -1, v9
	v_mul_lo_u32 v11, 0xbc8f, v11
	v_sub_nc_u32_e32 v13, 0, v10
	s_delay_alu instid0(VALU_DEP_2) | instskip(NEXT) | instid1(VALU_DEP_2)
	v_cmp_lt_u32_e32 vcc_lo, v11, v10
	v_cndmask_b32_e32 v10, v13, v12, vcc_lo
	s_delay_alu instid0(VALU_DEP_1) | instskip(NEXT) | instid1(VALU_DEP_1)
	v_add_nc_u32_e32 v11, v10, v11
	v_mul_hi_u32 v10, 0xbc8f1391, v11
	s_delay_alu instid0(VALU_DEP_1) | instskip(NEXT) | instid1(VALU_DEP_1)
	v_lshrrev_b32_e32 v10, 15, v10
	v_mul_u32_u24_e32 v12, 0xadc8, v10
	v_mul_u32_u24_e32 v10, 0xd47, v10
	s_delay_alu instid0(VALU_DEP_2) | instskip(NEXT) | instid1(VALU_DEP_2)
	v_sub_nc_u32_e32 v12, v11, v12
	v_xor_b32_e32 v13, 0x7fffffff, v10
	s_delay_alu instid0(VALU_DEP_2) | instskip(SKIP_1) | instid1(VALU_DEP_2)
	v_mul_lo_u32 v12, 0xbc8f, v12
	v_sub_nc_u32_e32 v14, 0, v10
	v_cmp_lt_u32_e32 vcc_lo, v12, v10
	s_delay_alu instid0(VALU_DEP_2) | instskip(NEXT) | instid1(VALU_DEP_1)
	v_cndmask_b32_e32 v10, v14, v13, vcc_lo
	v_dual_add_f32 v14, 1.0, v5 :: v_dual_add_nc_u32 v12, v10, v12
	s_delay_alu instid0(VALU_DEP_1) | instskip(NEXT) | instid1(VALU_DEP_1)
	v_mul_hi_u32 v10, 0xbc8f1391, v12
	v_lshrrev_b32_e32 v10, 15, v10
	s_delay_alu instid0(VALU_DEP_1) | instskip(SKIP_2) | instid1(VALU_DEP_3)
	v_mul_u32_u24_e32 v13, 0xadc8, v10
	v_mul_u32_u24_e32 v15, 0xd47, v10
	v_cvt_f32_u32_e32 v10, v9
	v_sub_nc_u32_e32 v13, v12, v13
	s_delay_alu instid0(VALU_DEP_3) | instskip(SKIP_1) | instid1(VALU_DEP_3)
	v_xor_b32_e32 v9, 0x7fffffff, v15
	v_dual_sub_nc_u32 v16, 0, v15 :: v_dual_add_nc_u32 v12, -1, v12
	v_mul_lo_u32 v13, 0xbc8f, v13
	s_delay_alu instid0(VALU_DEP_2) | instskip(NEXT) | instid1(VALU_DEP_2)
	v_cvt_f32_u32_e32 v12, v12
	v_cmp_lt_u32_e32 vcc_lo, v13, v15
	s_delay_alu instid0(VALU_DEP_4) | instskip(NEXT) | instid1(VALU_DEP_1)
	v_dual_add_nc_u32 v11, -1, v11 :: v_dual_cndmask_b32 v9, v16, v9, vcc_lo
	v_cvt_f32_u32_e32 v11, v11
	s_delay_alu instid0(VALU_DEP_2) | instskip(NEXT) | instid1(VALU_DEP_2)
	v_add_nc_u32_e32 v9, v9, v13
	v_pk_fma_f32 v[10:11], v[10:11], s[10:11], 0 op_sel_hi:[1,0,0]
	s_delay_alu instid0(VALU_DEP_1) | instskip(NEXT) | instid1(VALU_DEP_1)
	v_pk_mul_f32 v[10:11], v[10:11], v[10:11]
	v_dual_add_nc_u32 v13, -1, v9 :: v_dual_add_f32 v15, v10, v11
	s_delay_alu instid0(VALU_DEP_1) | instskip(NEXT) | instid1(VALU_DEP_2)
	v_cvt_f32_u32_e32 v13, v13
	v_cmp_gt_f32_e32 vcc_lo, 0xf800000, v15
	s_delay_alu instid0(VALU_DEP_2) | instskip(NEXT) | instid1(VALU_DEP_1)
	v_pk_fma_f32 v[10:11], v[12:13], s[10:11], 0 op_sel_hi:[1,0,0]
	v_pk_mul_f32 v[10:11], v[10:11], v[10:11]
	s_delay_alu instid0(VALU_DEP_1) | instskip(NEXT) | instid1(VALU_DEP_1)
	v_add_f32_e32 v10, v10, v11
	v_dual_mul_f32 v12, 0x4f800000, v15 :: v_dual_mul_f32 v13, 0x4f800000, v10
	s_delay_alu instid0(VALU_DEP_1) | instskip(SKIP_1) | instid1(VALU_DEP_2)
	v_cndmask_b32_e32 v12, v15, v12, vcc_lo
	v_cmp_gt_f32_e64 s7, 0xf800000, v10
	v_sqrt_f32_e32 v11, v12
	v_nop
	s_delay_alu instid0(TRANS32_DEP_1) | instskip(NEXT) | instid1(VALU_DEP_1)
	v_dual_add_nc_u32 v15, -1, v11 :: v_dual_cndmask_b32 v10, v10, v13, s7
	v_dual_add_nc_u32 v13, 1, v11 :: v_dual_fma_f32 v16, -v15, v11, v12
	s_delay_alu instid0(VALU_DEP_2) | instskip(NEXT) | instid1(VALU_DEP_1)
	v_sqrt_f32_e32 v17, v10
	v_fma_f32 v18, -v13, v11, v12
	s_delay_alu instid0(VALU_DEP_2)
	v_cmp_ge_f32_e64 s8, 0, v16
	s_delay_alu instid0(TRANS32_DEP_1) | instid1(VALU_DEP_1)
	v_dual_cndmask_b32 v11, v11, v15, s8 :: v_dual_add_nc_u32 v15, -1, v17
	s_delay_alu instid0(VALU_DEP_3) | instskip(NEXT) | instid1(VALU_DEP_1)
	v_cmp_lt_f32_e64 s8, 0, v18
	v_cndmask_b32_e64 v11, v11, v13, s8
	s_delay_alu instid0(VALU_DEP_3) | instskip(NEXT) | instid1(VALU_DEP_1)
	v_dual_add_nc_u32 v13, 1, v17 :: v_dual_fma_f32 v16, -v15, v17, v10
	v_fma_f32 v19, -v13, v17, v10
	s_delay_alu instid0(VALU_DEP_2) | instskip(NEXT) | instid1(VALU_DEP_1)
	v_cmp_ge_f32_e64 s8, 0, v16
	v_cndmask_b32_e64 v15, v17, v15, s8
	v_mul_f32_e32 v18, 0x37800000, v11
	s_delay_alu instid0(VALU_DEP_4) | instskip(NEXT) | instid1(VALU_DEP_1)
	v_cmp_lt_f32_e64 s8, 0, v19
	v_cndmask_b32_e64 v13, v15, v13, s8
	s_delay_alu instid0(VALU_DEP_3) | instskip(SKIP_1) | instid1(VALU_DEP_2)
	v_cndmask_b32_e32 v11, v11, v18, vcc_lo
	v_cmp_class_f32_e64 vcc_lo, v12, 0x260
	v_dual_cndmask_b32 v11, v11, v12 :: v_dual_mul_f32 v12, 0x37800000, v13
	s_delay_alu instid0(VALU_DEP_1) | instskip(NEXT) | instid1(VALU_DEP_2)
	v_cmp_nge_f32_e32 vcc_lo, 1.0, v11
	v_dual_cndmask_b32 v11, v13, v12, s7 :: v_dual_cndmask_b32 v5, v14, v5, vcc_lo
	v_cmp_class_f32_e64 vcc_lo, v10, 0x260
	s_delay_alu instid0(VALU_DEP_1) | instskip(NEXT) | instid1(VALU_DEP_1)
	v_dual_add_f32 v12, 1.0, v5 :: v_dual_cndmask_b32 v10, v11, v10, vcc_lo
	v_cmp_nge_f32_e32 vcc_lo, 1.0, v10
	s_delay_alu instid0(VALU_DEP_2)
	v_cndmask_b32_e32 v5, v12, v5, vcc_lo
	s_cbranch_scc1 .LBB27_374
; %bb.375:
	s_delay_alu instid0(VALU_DEP_1) | instskip(NEXT) | instid1(VALU_DEP_1)
	v_mul_f32_e32 v5, 4.0, v5
	v_div_scale_f32 v9, null, 0x461c4000, 0x461c4000, v5
	s_delay_alu instid0(VALU_DEP_1) | instskip(SKIP_1) | instid1(TRANS32_DEP_1)
	v_rcp_f32_e32 v10, v9
	v_nop
	v_fma_f32 v11, -v9, v10, 1.0
	s_delay_alu instid0(VALU_DEP_1) | instskip(SKIP_1) | instid1(VALU_DEP_1)
	v_fmac_f32_e32 v10, v11, v10
	v_div_scale_f32 v11, vcc_lo, v5, 0x461c4000, v5
	v_mul_f32_e32 v12, v11, v10
	s_delay_alu instid0(VALU_DEP_1) | instskip(NEXT) | instid1(VALU_DEP_1)
	v_fma_f32 v13, -v9, v12, v11
	v_fmac_f32_e32 v12, v13, v10
	s_delay_alu instid0(VALU_DEP_1) | instskip(NEXT) | instid1(VALU_DEP_1)
	v_fma_f32 v9, -v9, v12, v11
	v_div_fmas_f32 v9, v9, v10, v12
	s_delay_alu instid0(VALU_DEP_1)
	v_div_fixup_f32 v5, v9, 0x461c4000, v5
.LBB27_376:
	s_or_b32 exec_lo, exec_lo, s9
	v_or_b32_e32 v9, 0x600, v0
	s_delay_alu instid0(VALU_DEP_1)
	v_cmp_gt_u32_e64 s7, s13, v9
	s_and_saveexec_b32 s12, s7
	s_cbranch_execz .LBB27_380
; %bb.377:
	v_add_nc_u32_e32 v8, s11, v9
	s_movk_i32 s14, 0x2710
	s_brev_b32 s10, 12
	s_delay_alu instid0(VALU_DEP_1) | instskip(NEXT) | instid1(VALU_DEP_1)
	v_lshlrev_b32_e32 v9, 12, v8
	v_add3_u32 v8, v8, v9, 0x7ed55d16
	s_delay_alu instid0(VALU_DEP_1) | instskip(NEXT) | instid1(VALU_DEP_1)
	v_lshrrev_b32_e32 v9, 19, v8
	v_xor3_b32 v8, v8, v9, 0xc761c23c
	s_delay_alu instid0(VALU_DEP_1) | instskip(NEXT) | instid1(VALU_DEP_1)
	v_lshl_add_u32 v8, v8, 5, v8
	v_add_nc_u32_e32 v9, 0xe9f8cc1d, v8
	v_lshl_add_u32 v8, v8, 9, 0xaccf6200
	s_delay_alu instid0(VALU_DEP_1) | instskip(NEXT) | instid1(VALU_DEP_1)
	v_xor_b32_e32 v8, v9, v8
	v_lshlrev_b32_e32 v9, 3, v8
	s_delay_alu instid0(VALU_DEP_1) | instskip(NEXT) | instid1(VALU_DEP_1)
	v_add3_u32 v8, v8, v9, 0xfd7046c5
	v_lshrrev_b32_e32 v9, 16, v8
	s_delay_alu instid0(VALU_DEP_1) | instskip(NEXT) | instid1(VALU_DEP_1)
	v_xor3_b32 v8, v8, v9, 0xb55a4f09
	v_mul_hi_u32 v9, v8, 3
	s_delay_alu instid0(VALU_DEP_1) | instskip(NEXT) | instid1(VALU_DEP_1)
	v_sub_nc_u32_e32 v10, v8, v9
	v_lshrrev_b32_e32 v10, 1, v10
	s_delay_alu instid0(VALU_DEP_1) | instskip(NEXT) | instid1(VALU_DEP_1)
	v_add_nc_u32_e32 v9, v10, v9
	v_lshrrev_b32_e32 v9, 30, v9
	s_delay_alu instid0(VALU_DEP_1) | instskip(NEXT) | instid1(VALU_DEP_1)
	v_mul_lo_u32 v9, 0x7fffffff, v9
	v_sub_nc_u32_e32 v8, v8, v9
	s_delay_alu instid0(VALU_DEP_1)
	v_max_u32_e32 v9, 1, v8
	v_mov_b32_e32 v8, 0
.LBB27_378:                             ; =>This Inner Loop Header: Depth=1
	s_delay_alu instid0(VALU_DEP_2) | instskip(SKIP_1) | instid1(SALU_CYCLE_1)
	v_mul_hi_u32 v10, 0xbc8f1391, v9
	s_add_co_i32 s14, s14, -2
	s_cmp_lg_u32 s14, 0
	s_delay_alu instid0(VALU_DEP_1) | instskip(NEXT) | instid1(VALU_DEP_1)
	v_lshrrev_b32_e32 v10, 15, v10
	v_mul_u32_u24_e32 v11, 0xadc8, v10
	s_delay_alu instid0(VALU_DEP_1) | instskip(SKIP_1) | instid1(VALU_DEP_2)
	v_sub_nc_u32_e32 v9, v9, v11
	v_mul_u32_u24_e32 v10, 0xd47, v10
	v_mul_lo_u32 v9, 0xbc8f, v9
	s_delay_alu instid0(VALU_DEP_2) | instskip(SKIP_1) | instid1(VALU_DEP_3)
	v_xor_b32_e32 v11, 0x7fffffff, v10
	v_sub_nc_u32_e32 v12, 0, v10
	v_cmp_lt_u32_e32 vcc_lo, v9, v10
	s_delay_alu instid0(VALU_DEP_2) | instskip(NEXT) | instid1(VALU_DEP_1)
	v_cndmask_b32_e32 v10, v12, v11, vcc_lo
	v_add_nc_u32_e32 v9, v10, v9
	s_delay_alu instid0(VALU_DEP_1) | instskip(NEXT) | instid1(VALU_DEP_1)
	v_mul_hi_u32 v10, 0xbc8f1391, v9
	v_lshrrev_b32_e32 v10, 15, v10
	s_delay_alu instid0(VALU_DEP_1) | instskip(SKIP_1) | instid1(VALU_DEP_2)
	v_mul_u32_u24_e32 v11, 0xadc8, v10
	v_mul_u32_u24_e32 v10, 0xd47, v10
	v_sub_nc_u32_e32 v11, v9, v11
	s_delay_alu instid0(VALU_DEP_2) | instskip(SKIP_1) | instid1(VALU_DEP_3)
	v_xor_b32_e32 v12, 0x7fffffff, v10
	v_add_nc_u32_e32 v9, -1, v9
	v_mul_lo_u32 v11, 0xbc8f, v11
	v_sub_nc_u32_e32 v13, 0, v10
	s_delay_alu instid0(VALU_DEP_2) | instskip(NEXT) | instid1(VALU_DEP_2)
	v_cmp_lt_u32_e32 vcc_lo, v11, v10
	v_cndmask_b32_e32 v10, v13, v12, vcc_lo
	s_delay_alu instid0(VALU_DEP_1) | instskip(NEXT) | instid1(VALU_DEP_1)
	v_add_nc_u32_e32 v11, v10, v11
	v_mul_hi_u32 v10, 0xbc8f1391, v11
	s_delay_alu instid0(VALU_DEP_1) | instskip(NEXT) | instid1(VALU_DEP_1)
	v_lshrrev_b32_e32 v10, 15, v10
	v_mul_u32_u24_e32 v12, 0xadc8, v10
	v_mul_u32_u24_e32 v10, 0xd47, v10
	s_delay_alu instid0(VALU_DEP_2) | instskip(NEXT) | instid1(VALU_DEP_2)
	v_sub_nc_u32_e32 v12, v11, v12
	v_xor_b32_e32 v13, 0x7fffffff, v10
	s_delay_alu instid0(VALU_DEP_2) | instskip(SKIP_1) | instid1(VALU_DEP_2)
	v_mul_lo_u32 v12, 0xbc8f, v12
	v_sub_nc_u32_e32 v14, 0, v10
	v_cmp_lt_u32_e32 vcc_lo, v12, v10
	s_delay_alu instid0(VALU_DEP_2) | instskip(NEXT) | instid1(VALU_DEP_1)
	v_dual_cndmask_b32 v10, v14, v13, vcc_lo :: v_dual_add_f32 v14, 1.0, v8
	v_add_nc_u32_e32 v12, v10, v12
	s_delay_alu instid0(VALU_DEP_1) | instskip(NEXT) | instid1(VALU_DEP_1)
	v_mul_hi_u32 v10, 0xbc8f1391, v12
	v_lshrrev_b32_e32 v10, 15, v10
	s_delay_alu instid0(VALU_DEP_1) | instskip(SKIP_2) | instid1(VALU_DEP_3)
	v_mul_u32_u24_e32 v13, 0xadc8, v10
	v_mul_u32_u24_e32 v15, 0xd47, v10
	v_cvt_f32_u32_e32 v10, v9
	v_sub_nc_u32_e32 v13, v12, v13
	s_delay_alu instid0(VALU_DEP_3) | instskip(SKIP_1) | instid1(VALU_DEP_3)
	v_xor_b32_e32 v9, 0x7fffffff, v15
	v_dual_sub_nc_u32 v16, 0, v15 :: v_dual_add_nc_u32 v12, -1, v12
	v_mul_lo_u32 v13, 0xbc8f, v13
	s_delay_alu instid0(VALU_DEP_2) | instskip(NEXT) | instid1(VALU_DEP_2)
	v_cvt_f32_u32_e32 v12, v12
	v_cmp_lt_u32_e32 vcc_lo, v13, v15
	s_delay_alu instid0(VALU_DEP_4) | instskip(NEXT) | instid1(VALU_DEP_1)
	v_dual_add_nc_u32 v11, -1, v11 :: v_dual_cndmask_b32 v9, v16, v9, vcc_lo
	v_cvt_f32_u32_e32 v11, v11
	s_delay_alu instid0(VALU_DEP_2) | instskip(NEXT) | instid1(VALU_DEP_2)
	v_add_nc_u32_e32 v9, v9, v13
	v_pk_fma_f32 v[10:11], v[10:11], s[10:11], 0 op_sel_hi:[1,0,0]
	s_delay_alu instid0(VALU_DEP_1) | instskip(NEXT) | instid1(VALU_DEP_1)
	v_pk_mul_f32 v[10:11], v[10:11], v[10:11]
	v_dual_add_nc_u32 v13, -1, v9 :: v_dual_add_f32 v15, v10, v11
	s_delay_alu instid0(VALU_DEP_1) | instskip(NEXT) | instid1(VALU_DEP_2)
	v_cvt_f32_u32_e32 v13, v13
	v_cmp_gt_f32_e32 vcc_lo, 0xf800000, v15
	s_delay_alu instid0(VALU_DEP_2) | instskip(NEXT) | instid1(VALU_DEP_1)
	v_pk_fma_f32 v[10:11], v[12:13], s[10:11], 0 op_sel_hi:[1,0,0]
	v_pk_mul_f32 v[10:11], v[10:11], v[10:11]
	s_delay_alu instid0(VALU_DEP_1) | instskip(NEXT) | instid1(VALU_DEP_1)
	v_add_f32_e32 v10, v10, v11
	v_dual_mul_f32 v12, 0x4f800000, v15 :: v_dual_mul_f32 v13, 0x4f800000, v10
	s_delay_alu instid0(VALU_DEP_1) | instskip(SKIP_1) | instid1(VALU_DEP_2)
	v_cndmask_b32_e32 v12, v15, v12, vcc_lo
	v_cmp_gt_f32_e64 s8, 0xf800000, v10
	v_sqrt_f32_e32 v11, v12
	v_nop
	s_delay_alu instid0(TRANS32_DEP_1) | instskip(NEXT) | instid1(VALU_DEP_1)
	v_dual_add_nc_u32 v15, -1, v11 :: v_dual_cndmask_b32 v10, v10, v13, s8
	v_dual_add_nc_u32 v13, 1, v11 :: v_dual_fma_f32 v16, -v15, v11, v12
	s_delay_alu instid0(VALU_DEP_2) | instskip(NEXT) | instid1(VALU_DEP_1)
	v_sqrt_f32_e32 v17, v10
	v_fma_f32 v18, -v13, v11, v12
	s_delay_alu instid0(VALU_DEP_2)
	v_cmp_ge_f32_e64 s9, 0, v16
	s_delay_alu instid0(TRANS32_DEP_1) | instid1(VALU_DEP_1)
	v_dual_cndmask_b32 v11, v11, v15, s9 :: v_dual_add_nc_u32 v15, -1, v17
	s_delay_alu instid0(VALU_DEP_3) | instskip(NEXT) | instid1(VALU_DEP_1)
	v_cmp_lt_f32_e64 s9, 0, v18
	v_cndmask_b32_e64 v11, v11, v13, s9
	s_delay_alu instid0(VALU_DEP_3) | instskip(NEXT) | instid1(VALU_DEP_1)
	v_dual_add_nc_u32 v13, 1, v17 :: v_dual_fma_f32 v16, -v15, v17, v10
	v_fma_f32 v19, -v13, v17, v10
	s_delay_alu instid0(VALU_DEP_2) | instskip(NEXT) | instid1(VALU_DEP_1)
	v_cmp_ge_f32_e64 s9, 0, v16
	v_cndmask_b32_e64 v15, v17, v15, s9
	v_mul_f32_e32 v18, 0x37800000, v11
	s_delay_alu instid0(VALU_DEP_4) | instskip(NEXT) | instid1(VALU_DEP_1)
	v_cmp_lt_f32_e64 s9, 0, v19
	v_cndmask_b32_e64 v13, v15, v13, s9
	s_delay_alu instid0(VALU_DEP_3) | instskip(SKIP_1) | instid1(VALU_DEP_2)
	v_cndmask_b32_e32 v11, v11, v18, vcc_lo
	v_cmp_class_f32_e64 vcc_lo, v12, 0x260
	v_cndmask_b32_e32 v11, v11, v12, vcc_lo
	s_delay_alu instid0(VALU_DEP_1) | instskip(SKIP_3) | instid1(VALU_DEP_2)
	v_cmp_nge_f32_e32 vcc_lo, 1.0, v11
	v_cndmask_b32_e32 v8, v14, v8, vcc_lo
	v_mul_f32_e32 v12, 0x37800000, v13
	v_cmp_class_f32_e64 vcc_lo, v10, 0x260
	v_cndmask_b32_e64 v11, v13, v12, s8
	s_delay_alu instid0(VALU_DEP_1) | instskip(NEXT) | instid1(VALU_DEP_1)
	v_dual_add_f32 v12, 1.0, v8 :: v_dual_cndmask_b32 v10, v11, v10, vcc_lo
	v_cmp_nge_f32_e32 vcc_lo, 1.0, v10
	s_delay_alu instid0(VALU_DEP_2)
	v_cndmask_b32_e32 v8, v12, v8, vcc_lo
	s_cbranch_scc1 .LBB27_378
; %bb.379:
	s_delay_alu instid0(VALU_DEP_1) | instskip(NEXT) | instid1(VALU_DEP_1)
	v_mul_f32_e32 v8, 4.0, v8
	v_div_scale_f32 v9, null, 0x461c4000, 0x461c4000, v8
	s_delay_alu instid0(VALU_DEP_1) | instskip(SKIP_1) | instid1(TRANS32_DEP_1)
	v_rcp_f32_e32 v10, v9
	v_nop
	v_fma_f32 v11, -v9, v10, 1.0
	s_delay_alu instid0(VALU_DEP_1) | instskip(SKIP_1) | instid1(VALU_DEP_1)
	v_fmac_f32_e32 v10, v11, v10
	v_div_scale_f32 v11, vcc_lo, v8, 0x461c4000, v8
	v_mul_f32_e32 v12, v11, v10
	s_delay_alu instid0(VALU_DEP_1) | instskip(NEXT) | instid1(VALU_DEP_1)
	v_fma_f32 v13, -v9, v12, v11
	v_fmac_f32_e32 v12, v13, v10
	s_delay_alu instid0(VALU_DEP_1) | instskip(NEXT) | instid1(VALU_DEP_1)
	v_fma_f32 v9, -v9, v12, v11
	v_div_fmas_f32 v9, v9, v10, v12
	s_delay_alu instid0(VALU_DEP_1)
	v_div_fixup_f32 v8, v9, 0x461c4000, v8
.LBB27_380:
	s_or_b32 exec_lo, exec_lo, s12
	v_or_b32_e32 v9, 0x700, v0
	s_delay_alu instid0(VALU_DEP_1)
	v_cmp_gt_u32_e64 s8, s13, v9
	s_and_saveexec_b32 s14, s8
	s_cbranch_execz .LBB27_384
; %bb.381:
	v_add_nc_u32_e32 v7, s11, v9
	s_movk_i32 s11, 0x2710
	s_brev_b32 s12, 12
	s_delay_alu instid0(VALU_DEP_1) | instskip(NEXT) | instid1(VALU_DEP_1)
	v_lshlrev_b32_e32 v9, 12, v7
	v_add3_u32 v7, v7, v9, 0x7ed55d16
	s_delay_alu instid0(VALU_DEP_1) | instskip(NEXT) | instid1(VALU_DEP_1)
	v_lshrrev_b32_e32 v9, 19, v7
	v_xor3_b32 v7, v7, v9, 0xc761c23c
	s_delay_alu instid0(VALU_DEP_1) | instskip(NEXT) | instid1(VALU_DEP_1)
	v_lshl_add_u32 v7, v7, 5, v7
	v_add_nc_u32_e32 v9, 0xe9f8cc1d, v7
	v_lshl_add_u32 v7, v7, 9, 0xaccf6200
	s_delay_alu instid0(VALU_DEP_1) | instskip(NEXT) | instid1(VALU_DEP_1)
	v_xor_b32_e32 v7, v9, v7
	v_lshlrev_b32_e32 v9, 3, v7
	s_delay_alu instid0(VALU_DEP_1) | instskip(NEXT) | instid1(VALU_DEP_1)
	v_add3_u32 v7, v7, v9, 0xfd7046c5
	v_lshrrev_b32_e32 v9, 16, v7
	s_delay_alu instid0(VALU_DEP_1) | instskip(NEXT) | instid1(VALU_DEP_1)
	v_xor3_b32 v7, v7, v9, 0xb55a4f09
	v_mul_hi_u32 v9, v7, 3
	s_delay_alu instid0(VALU_DEP_1) | instskip(NEXT) | instid1(VALU_DEP_1)
	v_sub_nc_u32_e32 v10, v7, v9
	v_lshrrev_b32_e32 v10, 1, v10
	s_delay_alu instid0(VALU_DEP_1) | instskip(NEXT) | instid1(VALU_DEP_1)
	v_add_nc_u32_e32 v9, v10, v9
	v_lshrrev_b32_e32 v9, 30, v9
	s_delay_alu instid0(VALU_DEP_1) | instskip(NEXT) | instid1(VALU_DEP_1)
	v_mul_lo_u32 v9, 0x7fffffff, v9
	v_sub_nc_u32_e32 v7, v7, v9
	s_delay_alu instid0(VALU_DEP_1)
	v_max_u32_e32 v9, 1, v7
	v_mov_b32_e32 v7, 0
.LBB27_382:                             ; =>This Inner Loop Header: Depth=1
	s_delay_alu instid0(VALU_DEP_2) | instskip(SKIP_1) | instid1(SALU_CYCLE_1)
	v_mul_hi_u32 v10, 0xbc8f1391, v9
	s_add_co_i32 s11, s11, -2
	s_cmp_lg_u32 s11, 0
	s_delay_alu instid0(VALU_DEP_1) | instskip(NEXT) | instid1(VALU_DEP_1)
	v_lshrrev_b32_e32 v10, 15, v10
	v_mul_u32_u24_e32 v11, 0xadc8, v10
	s_delay_alu instid0(VALU_DEP_1) | instskip(SKIP_1) | instid1(VALU_DEP_2)
	v_sub_nc_u32_e32 v9, v9, v11
	v_mul_u32_u24_e32 v10, 0xd47, v10
	v_mul_lo_u32 v9, 0xbc8f, v9
	s_delay_alu instid0(VALU_DEP_2) | instskip(SKIP_1) | instid1(VALU_DEP_3)
	v_xor_b32_e32 v11, 0x7fffffff, v10
	v_sub_nc_u32_e32 v12, 0, v10
	v_cmp_lt_u32_e32 vcc_lo, v9, v10
	s_delay_alu instid0(VALU_DEP_2) | instskip(NEXT) | instid1(VALU_DEP_1)
	v_cndmask_b32_e32 v10, v12, v11, vcc_lo
	v_add_nc_u32_e32 v9, v10, v9
	s_delay_alu instid0(VALU_DEP_1) | instskip(NEXT) | instid1(VALU_DEP_1)
	v_mul_hi_u32 v10, 0xbc8f1391, v9
	v_lshrrev_b32_e32 v10, 15, v10
	s_delay_alu instid0(VALU_DEP_1) | instskip(SKIP_1) | instid1(VALU_DEP_2)
	v_mul_u32_u24_e32 v11, 0xadc8, v10
	v_mul_u32_u24_e32 v10, 0xd47, v10
	v_sub_nc_u32_e32 v11, v9, v11
	s_delay_alu instid0(VALU_DEP_2) | instskip(SKIP_1) | instid1(VALU_DEP_3)
	v_xor_b32_e32 v12, 0x7fffffff, v10
	v_add_nc_u32_e32 v9, -1, v9
	v_mul_lo_u32 v11, 0xbc8f, v11
	v_sub_nc_u32_e32 v13, 0, v10
	s_delay_alu instid0(VALU_DEP_2) | instskip(NEXT) | instid1(VALU_DEP_2)
	v_cmp_lt_u32_e32 vcc_lo, v11, v10
	v_cndmask_b32_e32 v10, v13, v12, vcc_lo
	s_delay_alu instid0(VALU_DEP_1) | instskip(NEXT) | instid1(VALU_DEP_1)
	v_add_nc_u32_e32 v11, v10, v11
	v_mul_hi_u32 v10, 0xbc8f1391, v11
	s_delay_alu instid0(VALU_DEP_1) | instskip(NEXT) | instid1(VALU_DEP_1)
	v_lshrrev_b32_e32 v10, 15, v10
	v_mul_u32_u24_e32 v12, 0xadc8, v10
	v_mul_u32_u24_e32 v10, 0xd47, v10
	s_delay_alu instid0(VALU_DEP_2) | instskip(NEXT) | instid1(VALU_DEP_2)
	v_sub_nc_u32_e32 v12, v11, v12
	v_xor_b32_e32 v13, 0x7fffffff, v10
	s_delay_alu instid0(VALU_DEP_2) | instskip(SKIP_1) | instid1(VALU_DEP_2)
	v_mul_lo_u32 v12, 0xbc8f, v12
	v_sub_nc_u32_e32 v14, 0, v10
	v_cmp_lt_u32_e32 vcc_lo, v12, v10
	s_delay_alu instid0(VALU_DEP_2) | instskip(NEXT) | instid1(VALU_DEP_1)
	v_dual_cndmask_b32 v10, v14, v13, vcc_lo :: v_dual_add_f32 v14, 1.0, v7
	v_add_nc_u32_e32 v12, v10, v12
	s_delay_alu instid0(VALU_DEP_1) | instskip(NEXT) | instid1(VALU_DEP_1)
	v_mul_hi_u32 v10, 0xbc8f1391, v12
	v_lshrrev_b32_e32 v10, 15, v10
	s_delay_alu instid0(VALU_DEP_1) | instskip(SKIP_2) | instid1(VALU_DEP_3)
	v_mul_u32_u24_e32 v13, 0xadc8, v10
	v_mul_u32_u24_e32 v15, 0xd47, v10
	v_cvt_f32_u32_e32 v10, v9
	v_sub_nc_u32_e32 v13, v12, v13
	s_delay_alu instid0(VALU_DEP_3) | instskip(SKIP_1) | instid1(VALU_DEP_3)
	v_xor_b32_e32 v9, 0x7fffffff, v15
	v_dual_sub_nc_u32 v16, 0, v15 :: v_dual_add_nc_u32 v12, -1, v12
	v_mul_lo_u32 v13, 0xbc8f, v13
	s_delay_alu instid0(VALU_DEP_2) | instskip(NEXT) | instid1(VALU_DEP_2)
	v_cvt_f32_u32_e32 v12, v12
	v_cmp_lt_u32_e32 vcc_lo, v13, v15
	s_delay_alu instid0(VALU_DEP_4) | instskip(NEXT) | instid1(VALU_DEP_1)
	v_dual_add_nc_u32 v11, -1, v11 :: v_dual_cndmask_b32 v9, v16, v9, vcc_lo
	v_cvt_f32_u32_e32 v11, v11
	s_delay_alu instid0(VALU_DEP_2) | instskip(NEXT) | instid1(VALU_DEP_2)
	v_add_nc_u32_e32 v9, v9, v13
	v_pk_fma_f32 v[10:11], v[10:11], s[12:13], 0 op_sel_hi:[1,0,0]
	s_delay_alu instid0(VALU_DEP_1) | instskip(NEXT) | instid1(VALU_DEP_1)
	v_pk_mul_f32 v[10:11], v[10:11], v[10:11]
	v_dual_add_nc_u32 v13, -1, v9 :: v_dual_add_f32 v15, v10, v11
	s_delay_alu instid0(VALU_DEP_1) | instskip(NEXT) | instid1(VALU_DEP_2)
	v_cvt_f32_u32_e32 v13, v13
	v_cmp_gt_f32_e32 vcc_lo, 0xf800000, v15
	s_delay_alu instid0(VALU_DEP_2) | instskip(NEXT) | instid1(VALU_DEP_1)
	v_pk_fma_f32 v[10:11], v[12:13], s[12:13], 0 op_sel_hi:[1,0,0]
	v_pk_mul_f32 v[10:11], v[10:11], v[10:11]
	s_delay_alu instid0(VALU_DEP_1) | instskip(NEXT) | instid1(VALU_DEP_1)
	v_add_f32_e32 v10, v10, v11
	v_dual_mul_f32 v12, 0x4f800000, v15 :: v_dual_mul_f32 v13, 0x4f800000, v10
	s_delay_alu instid0(VALU_DEP_1) | instskip(SKIP_1) | instid1(VALU_DEP_2)
	v_cndmask_b32_e32 v12, v15, v12, vcc_lo
	v_cmp_gt_f32_e64 s9, 0xf800000, v10
	v_sqrt_f32_e32 v11, v12
	v_nop
	s_delay_alu instid0(TRANS32_DEP_1) | instskip(NEXT) | instid1(VALU_DEP_1)
	v_dual_add_nc_u32 v15, -1, v11 :: v_dual_cndmask_b32 v10, v10, v13, s9
	v_dual_add_nc_u32 v13, 1, v11 :: v_dual_fma_f32 v16, -v15, v11, v12
	s_delay_alu instid0(VALU_DEP_2) | instskip(NEXT) | instid1(VALU_DEP_1)
	v_sqrt_f32_e32 v17, v10
	v_fma_f32 v18, -v13, v11, v12
	s_delay_alu instid0(VALU_DEP_2)
	v_cmp_ge_f32_e64 s10, 0, v16
	s_delay_alu instid0(TRANS32_DEP_1) | instid1(VALU_DEP_1)
	v_dual_cndmask_b32 v11, v11, v15, s10 :: v_dual_add_nc_u32 v15, -1, v17
	s_delay_alu instid0(VALU_DEP_3) | instskip(NEXT) | instid1(VALU_DEP_1)
	v_cmp_lt_f32_e64 s10, 0, v18
	v_cndmask_b32_e64 v11, v11, v13, s10
	s_delay_alu instid0(VALU_DEP_3) | instskip(NEXT) | instid1(VALU_DEP_1)
	v_dual_add_nc_u32 v13, 1, v17 :: v_dual_fma_f32 v16, -v15, v17, v10
	v_fma_f32 v19, -v13, v17, v10
	s_delay_alu instid0(VALU_DEP_2) | instskip(NEXT) | instid1(VALU_DEP_1)
	v_cmp_ge_f32_e64 s10, 0, v16
	v_cndmask_b32_e64 v15, v17, v15, s10
	v_mul_f32_e32 v18, 0x37800000, v11
	s_delay_alu instid0(VALU_DEP_4) | instskip(NEXT) | instid1(VALU_DEP_1)
	v_cmp_lt_f32_e64 s10, 0, v19
	v_cndmask_b32_e64 v13, v15, v13, s10
	s_delay_alu instid0(VALU_DEP_3) | instskip(SKIP_1) | instid1(VALU_DEP_2)
	v_cndmask_b32_e32 v11, v11, v18, vcc_lo
	v_cmp_class_f32_e64 vcc_lo, v12, 0x260
	v_cndmask_b32_e32 v11, v11, v12, vcc_lo
	s_delay_alu instid0(VALU_DEP_1) | instskip(SKIP_2) | instid1(VALU_DEP_2)
	v_cmp_nge_f32_e32 vcc_lo, 1.0, v11
	v_dual_cndmask_b32 v7, v14, v7 :: v_dual_mul_f32 v12, 0x37800000, v13
	v_cmp_class_f32_e64 vcc_lo, v10, 0x260
	v_dual_cndmask_b32 v11, v13, v12, s9 :: v_dual_add_f32 v12, 1.0, v7
	s_delay_alu instid0(VALU_DEP_1) | instskip(NEXT) | instid1(VALU_DEP_1)
	v_cndmask_b32_e32 v10, v11, v10, vcc_lo
	v_cmp_nge_f32_e32 vcc_lo, 1.0, v10
	s_delay_alu instid0(VALU_DEP_3)
	v_cndmask_b32_e32 v7, v12, v7, vcc_lo
	s_cbranch_scc1 .LBB27_382
; %bb.383:
	s_delay_alu instid0(VALU_DEP_1) | instskip(NEXT) | instid1(VALU_DEP_1)
	v_mul_f32_e32 v7, 4.0, v7
	v_div_scale_f32 v9, null, 0x461c4000, 0x461c4000, v7
	s_delay_alu instid0(VALU_DEP_1) | instskip(SKIP_1) | instid1(TRANS32_DEP_1)
	v_rcp_f32_e32 v10, v9
	v_nop
	v_fma_f32 v11, -v9, v10, 1.0
	s_delay_alu instid0(VALU_DEP_1) | instskip(SKIP_1) | instid1(VALU_DEP_1)
	v_fmac_f32_e32 v10, v11, v10
	v_div_scale_f32 v11, vcc_lo, v7, 0x461c4000, v7
	v_mul_f32_e32 v12, v11, v10
	s_delay_alu instid0(VALU_DEP_1) | instskip(NEXT) | instid1(VALU_DEP_1)
	v_fma_f32 v13, -v9, v12, v11
	v_fmac_f32_e32 v12, v13, v10
	s_delay_alu instid0(VALU_DEP_1) | instskip(NEXT) | instid1(VALU_DEP_1)
	v_fma_f32 v9, -v9, v12, v11
	v_div_fmas_f32 v9, v9, v10, v12
	s_delay_alu instid0(VALU_DEP_1)
	v_div_fixup_f32 v7, v9, 0x461c4000, v7
.LBB27_384:
	s_or_b32 exec_lo, exec_lo, s14
	v_add_f32_e32 v1, v2, v1
	s_delay_alu instid0(VALU_DEP_1) | instskip(NEXT) | instid1(VALU_DEP_1)
	v_cndmask_b32_e64 v1, v2, v1, s2
	v_add_f32_e32 v2, v4, v1
	s_delay_alu instid0(VALU_DEP_1) | instskip(SKIP_1) | instid1(VALU_DEP_1)
	v_cndmask_b32_e64 v1, v1, v2, s3
	s_min_u32 s3, s13, 0x100
	v_add_f32_e32 v2, v3, v1
	s_delay_alu instid0(VALU_DEP_1) | instskip(NEXT) | instid1(VALU_DEP_1)
	v_cndmask_b32_e64 v1, v1, v2, s4
	v_add_f32_e32 v2, v6, v1
	s_delay_alu instid0(VALU_DEP_1) | instskip(NEXT) | instid1(VALU_DEP_1)
	v_cndmask_b32_e64 v1, v1, v2, s5
	v_add_f32_e32 v2, v5, v1
	s_delay_alu instid0(VALU_DEP_1) | instskip(SKIP_1) | instid1(VALU_DEP_2)
	v_cndmask_b32_e64 v1, v1, v2, s6
	v_mbcnt_lo_u32_b32 v2, -1, 0
	v_add_f32_e32 v3, v8, v1
	s_delay_alu instid0(VALU_DEP_2) | instskip(SKIP_2) | instid1(VALU_DEP_4)
	v_cmp_ne_u32_e32 vcc_lo, 31, v2
	v_add_nc_u32_e32 v6, 1, v2
	v_cmp_gt_u32_e64 s2, 28, v2
	v_cndmask_b32_e64 v1, v1, v3, s7
	v_add_co_ci_u32_e64 v3, null, 0, v2, vcc_lo
	v_cmp_gt_u32_e32 vcc_lo, 30, v2
	s_delay_alu instid0(VALU_DEP_2) | instskip(SKIP_2) | instid1(VALU_DEP_3)
	v_dual_add_f32 v4, v7, v1 :: v_dual_lshlrev_b32 v3, 2, v3
	v_add_nc_u32_e32 v7, 2, v2
	v_cndmask_b32_e64 v5, 0, 2, vcc_lo
	v_cndmask_b32_e64 v1, v1, v4, s8
	v_and_b32_e32 v4, 0xe0, v0
	s_delay_alu instid0(VALU_DEP_3) | instskip(SKIP_2) | instid1(VALU_DEP_1)
	v_add_lshl_u32 v5, v5, v2, 2
	ds_bpermute_b32 v3, v3, v1
	v_sub_nc_u32_e64 v4, s3, v4 clamp
	v_cmp_lt_u32_e32 vcc_lo, v6, v4
	v_cndmask_b32_e64 v6, 0, 4, s2
	v_cmp_lt_u32_e64 s2, v7, v4
	v_add_nc_u32_e32 v7, 4, v2
	s_delay_alu instid0(VALU_DEP_3) | instskip(SKIP_2) | instid1(VALU_DEP_1)
	v_add_lshl_u32 v6, v6, v2, 2
	s_wait_dscnt 0x0
	v_add_f32_e32 v3, v1, v3
	v_cndmask_b32_e32 v3, v1, v3, vcc_lo
	ds_bpermute_b32 v5, v5, v3
	s_wait_dscnt 0x0
	v_add_f32_e32 v5, v3, v5
	s_delay_alu instid0(VALU_DEP_1)
	v_cndmask_b32_e64 v3, v3, v5, s2
	v_cmp_gt_u32_e64 s2, 24, v2
	ds_bpermute_b32 v5, v6, v3
	v_cndmask_b32_e64 v6, 0, 8, s2
	v_cmp_lt_u32_e64 s2, v7, v4
	v_add_nc_u32_e32 v7, 8, v2
	s_delay_alu instid0(VALU_DEP_3) | instskip(SKIP_2) | instid1(VALU_DEP_1)
	v_add_lshl_u32 v6, v6, v2, 2
	s_wait_dscnt 0x0
	v_add_f32_e32 v5, v3, v5
	v_dual_cndmask_b32 v5, v3, v5, s2 :: v_dual_lshlrev_b32 v3, 2, v2
	v_cmp_lt_u32_e64 s2, v7, v4
	v_add_nc_u32_e32 v7, 16, v2
	ds_bpermute_b32 v6, v6, v5
	s_wait_dscnt 0x0
	v_dual_add_f32 v6, v5, v6 :: v_dual_bitop2_b32 v8, 64, v3 bitop3:0x54
	s_delay_alu instid0(VALU_DEP_1) | instskip(SKIP_4) | instid1(VALU_DEP_1)
	v_cndmask_b32_e64 v5, v5, v6, s2
	v_cmp_lt_u32_e64 s2, v7, v4
	ds_bpermute_b32 v6, v8, v5
	s_wait_dscnt 0x0
	v_add_f32_e32 v6, v5, v6
	v_cndmask_b32_e64 v4, v5, v6, s2
	s_mov_b32 s2, exec_lo
	s_delay_alu instid0(VALU_DEP_1)
	v_cndmask_b32_e32 v1, v1, v4, vcc_lo
	v_cmpx_eq_u32_e32 0, v2
; %bb.385:
	v_lshrrev_b32_e32 v4, 3, v0
	s_delay_alu instid0(VALU_DEP_1)
	v_and_b32_e32 v4, 28, v4
	ds_store_b32 v4, v1 offset:192
; %bb.386:
	s_or_b32 exec_lo, exec_lo, s2
	s_delay_alu instid0(SALU_CYCLE_1)
	s_mov_b32 s4, exec_lo
	s_wait_dscnt 0x0
	s_barrier_signal -1
	s_barrier_wait -1
	v_cmpx_gt_u32_e32 8, v0
	s_cbranch_execz .LBB27_388
; %bb.387:
	ds_load_b32 v1, v3 offset:192
	v_and_b32_e32 v4, 7, v2
	s_add_co_i32 s3, s3, 31
	v_or_b32_e32 v3, 16, v3
	s_lshr_b32 s3, s3, 5
	s_delay_alu instid0(VALU_DEP_2) | instskip(SKIP_1) | instid1(VALU_DEP_1)
	v_cmp_ne_u32_e32 vcc_lo, 7, v4
	v_add_co_ci_u32_e64 v5, null, 0, v2, vcc_lo
	v_lshlrev_b32_e32 v5, 2, v5
	v_cmp_gt_u32_e32 vcc_lo, 6, v4
	s_wait_dscnt 0x0
	ds_bpermute_b32 v5, v5, v1
	v_add_nc_u32_e32 v7, 1, v4
	v_cndmask_b32_e64 v6, 0, 2, vcc_lo
	s_delay_alu instid0(VALU_DEP_1) | instskip(SKIP_1) | instid1(VALU_DEP_1)
	v_add_lshl_u32 v2, v6, v2, 2
	v_dual_add_nc_u32 v6, 2, v4 :: v_dual_add_nc_u32 v4, 4, v4
	v_cmp_gt_u32_e64 s2, s3, v6
	s_wait_dscnt 0x0
	v_add_f32_e32 v5, v1, v5
	v_cmp_gt_u32_e32 vcc_lo, s3, v7
	s_delay_alu instid0(VALU_DEP_2) | instskip(SKIP_3) | instid1(VALU_DEP_1)
	v_cndmask_b32_e32 v5, v1, v5, vcc_lo
	ds_bpermute_b32 v2, v2, v5
	s_wait_dscnt 0x0
	v_add_f32_e32 v2, v5, v2
	v_cndmask_b32_e64 v2, v5, v2, s2
	v_cmp_gt_u32_e64 s2, s3, v4
	ds_bpermute_b32 v3, v3, v2
	s_wait_dscnt 0x0
	v_add_f32_e32 v3, v2, v3
	s_delay_alu instid0(VALU_DEP_1) | instskip(NEXT) | instid1(VALU_DEP_1)
	v_cndmask_b32_e64 v2, v2, v3, s2
	v_cndmask_b32_e32 v1, v1, v2, vcc_lo
.LBB27_388:
	s_or_b32 exec_lo, exec_lo, s4
.LBB27_389:
	v_cmp_eq_u32_e64 s2, 0, v0
	s_branch .LBB27_474
.LBB27_390:
	s_cmp_gt_i32 s42, 1
	s_cbranch_scc0 .LBB27_407
; %bb.391:
	s_cmp_gt_i32 s42, 3
	s_cbranch_scc0 .LBB27_408
; %bb.392:
	s_cmp_eq_u32 s42, 4
	s_cbranch_scc0 .LBB27_409
; %bb.393:
	s_bfe_u32 s2, ttmp6, 0x4000c
	s_and_b32 s3, ttmp6, 15
	s_add_co_i32 s2, s2, 1
	s_getreg_b32 s4, hwreg(HW_REG_IB_STS2, 6, 4)
	s_mul_i32 s2, ttmp9, s2
	s_mov_b32 s41, 0
	s_add_co_i32 s3, s3, s2
	s_cmp_eq_u32 s4, 0
	s_cselect_b32 s40, ttmp9, s3
	s_lshr_b64 s[2:3], s[36:37], 10
	s_lshl_b32 s5, s40, 10
	s_delay_alu instid0(SALU_CYCLE_1)
	s_add_co_i32 s7, s43, s5
	s_cmp_lg_u64 s[2:3], s[40:41]
	s_cbranch_scc0 .LBB27_411
; %bb.394:
	v_add_nc_u32_e32 v2, s7, v0
	s_movk_i32 s6, 0x2710
	s_brev_b32 s4, 12
	s_delay_alu instid0(VALU_DEP_1) | instskip(NEXT) | instid1(VALU_DEP_1)
	v_lshlrev_b32_e32 v1, 12, v2
	v_add3_u32 v1, v2, v1, 0x7ed55d16
	s_delay_alu instid0(VALU_DEP_1) | instskip(NEXT) | instid1(VALU_DEP_1)
	v_lshrrev_b32_e32 v3, 19, v1
	v_xor3_b32 v1, v1, v3, 0xc761c23c
	s_delay_alu instid0(VALU_DEP_1) | instskip(NEXT) | instid1(VALU_DEP_1)
	v_lshl_add_u32 v1, v1, 5, v1
	v_add_nc_u32_e32 v3, 0xe9f8cc1d, v1
	v_lshl_add_u32 v1, v1, 9, 0xaccf6200
	s_delay_alu instid0(VALU_DEP_1) | instskip(NEXT) | instid1(VALU_DEP_1)
	v_xor_b32_e32 v1, v3, v1
	v_lshlrev_b32_e32 v3, 3, v1
	s_delay_alu instid0(VALU_DEP_1) | instskip(NEXT) | instid1(VALU_DEP_1)
	v_add3_u32 v1, v1, v3, 0xfd7046c5
	v_lshrrev_b32_e32 v3, 16, v1
	s_delay_alu instid0(VALU_DEP_1) | instskip(NEXT) | instid1(VALU_DEP_1)
	v_xor3_b32 v1, v1, v3, 0xb55a4f09
	v_mul_hi_u32 v3, v1, 3
	s_delay_alu instid0(VALU_DEP_1) | instskip(NEXT) | instid1(VALU_DEP_1)
	v_sub_nc_u32_e32 v4, v1, v3
	v_lshrrev_b32_e32 v4, 1, v4
	s_delay_alu instid0(VALU_DEP_1) | instskip(NEXT) | instid1(VALU_DEP_1)
	v_add_nc_u32_e32 v3, v4, v3
	v_lshrrev_b32_e32 v3, 30, v3
	s_delay_alu instid0(VALU_DEP_1) | instskip(NEXT) | instid1(VALU_DEP_1)
	v_mul_lo_u32 v3, 0x7fffffff, v3
	v_sub_nc_u32_e32 v1, v1, v3
	s_delay_alu instid0(VALU_DEP_1)
	v_max_u32_e32 v3, 1, v1
	v_mov_b32_e32 v1, 0
.LBB27_395:                             ; =>This Inner Loop Header: Depth=1
	s_delay_alu instid0(VALU_DEP_2) | instskip(SKIP_1) | instid1(SALU_CYCLE_1)
	v_mul_hi_u32 v4, 0xbc8f1391, v3
	s_add_co_i32 s6, s6, -2
	s_cmp_lg_u32 s6, 0
	s_delay_alu instid0(VALU_DEP_1) | instskip(NEXT) | instid1(VALU_DEP_1)
	v_lshrrev_b32_e32 v4, 15, v4
	v_mul_u32_u24_e32 v5, 0xadc8, v4
	s_delay_alu instid0(VALU_DEP_1) | instskip(SKIP_1) | instid1(VALU_DEP_2)
	v_sub_nc_u32_e32 v3, v3, v5
	v_mul_u32_u24_e32 v4, 0xd47, v4
	v_mul_lo_u32 v3, 0xbc8f, v3
	s_delay_alu instid0(VALU_DEP_2) | instskip(SKIP_1) | instid1(VALU_DEP_3)
	v_xor_b32_e32 v5, 0x7fffffff, v4
	v_sub_nc_u32_e32 v6, 0, v4
	v_cmp_lt_u32_e32 vcc_lo, v3, v4
	s_delay_alu instid0(VALU_DEP_2) | instskip(NEXT) | instid1(VALU_DEP_1)
	v_cndmask_b32_e32 v4, v6, v5, vcc_lo
	v_add_nc_u32_e32 v3, v4, v3
	s_delay_alu instid0(VALU_DEP_1) | instskip(NEXT) | instid1(VALU_DEP_1)
	v_mul_hi_u32 v4, 0xbc8f1391, v3
	v_lshrrev_b32_e32 v4, 15, v4
	s_delay_alu instid0(VALU_DEP_1) | instskip(SKIP_1) | instid1(VALU_DEP_2)
	v_mul_u32_u24_e32 v5, 0xadc8, v4
	v_mul_u32_u24_e32 v4, 0xd47, v4
	v_sub_nc_u32_e32 v5, v3, v5
	s_delay_alu instid0(VALU_DEP_2) | instskip(SKIP_1) | instid1(VALU_DEP_3)
	v_xor_b32_e32 v6, 0x7fffffff, v4
	v_add_nc_u32_e32 v3, -1, v3
	v_mul_lo_u32 v5, 0xbc8f, v5
	v_sub_nc_u32_e32 v7, 0, v4
	s_delay_alu instid0(VALU_DEP_2) | instskip(NEXT) | instid1(VALU_DEP_2)
	v_cmp_lt_u32_e32 vcc_lo, v5, v4
	v_cndmask_b32_e32 v4, v7, v6, vcc_lo
	s_delay_alu instid0(VALU_DEP_1) | instskip(NEXT) | instid1(VALU_DEP_1)
	v_add_nc_u32_e32 v5, v4, v5
	v_mul_hi_u32 v4, 0xbc8f1391, v5
	s_delay_alu instid0(VALU_DEP_1) | instskip(NEXT) | instid1(VALU_DEP_1)
	v_lshrrev_b32_e32 v4, 15, v4
	v_mul_u32_u24_e32 v6, 0xadc8, v4
	v_mul_u32_u24_e32 v4, 0xd47, v4
	s_delay_alu instid0(VALU_DEP_2) | instskip(NEXT) | instid1(VALU_DEP_2)
	v_sub_nc_u32_e32 v6, v5, v6
	v_xor_b32_e32 v7, 0x7fffffff, v4
	s_delay_alu instid0(VALU_DEP_2) | instskip(SKIP_1) | instid1(VALU_DEP_2)
	v_mul_lo_u32 v6, 0xbc8f, v6
	v_sub_nc_u32_e32 v8, 0, v4
	v_cmp_lt_u32_e32 vcc_lo, v6, v4
	s_delay_alu instid0(VALU_DEP_2) | instskip(NEXT) | instid1(VALU_DEP_1)
	v_dual_cndmask_b32 v4, v8, v7, vcc_lo :: v_dual_add_f32 v8, 1.0, v1
	v_add_nc_u32_e32 v6, v4, v6
	s_delay_alu instid0(VALU_DEP_1) | instskip(NEXT) | instid1(VALU_DEP_1)
	v_mul_hi_u32 v4, 0xbc8f1391, v6
	v_lshrrev_b32_e32 v4, 15, v4
	s_delay_alu instid0(VALU_DEP_1) | instskip(SKIP_2) | instid1(VALU_DEP_3)
	v_mul_u32_u24_e32 v7, 0xadc8, v4
	v_mul_u32_u24_e32 v9, 0xd47, v4
	v_cvt_f32_u32_e32 v4, v3
	v_sub_nc_u32_e32 v7, v6, v7
	s_delay_alu instid0(VALU_DEP_3) | instskip(SKIP_1) | instid1(VALU_DEP_3)
	v_xor_b32_e32 v3, 0x7fffffff, v9
	v_dual_sub_nc_u32 v10, 0, v9 :: v_dual_add_nc_u32 v6, -1, v6
	v_mul_lo_u32 v7, 0xbc8f, v7
	s_delay_alu instid0(VALU_DEP_2) | instskip(NEXT) | instid1(VALU_DEP_2)
	v_cvt_f32_u32_e32 v6, v6
	v_cmp_lt_u32_e32 vcc_lo, v7, v9
	s_delay_alu instid0(VALU_DEP_4) | instskip(NEXT) | instid1(VALU_DEP_1)
	v_dual_add_nc_u32 v5, -1, v5 :: v_dual_cndmask_b32 v3, v10, v3, vcc_lo
	v_cvt_f32_u32_e32 v5, v5
	s_delay_alu instid0(VALU_DEP_2) | instskip(NEXT) | instid1(VALU_DEP_2)
	v_add_nc_u32_e32 v3, v3, v7
	v_pk_fma_f32 v[4:5], v[4:5], s[4:5], 0 op_sel_hi:[1,0,0]
	s_delay_alu instid0(VALU_DEP_1) | instskip(NEXT) | instid1(VALU_DEP_1)
	v_pk_mul_f32 v[4:5], v[4:5], v[4:5]
	v_dual_add_nc_u32 v7, -1, v3 :: v_dual_add_f32 v9, v4, v5
	s_delay_alu instid0(VALU_DEP_1) | instskip(NEXT) | instid1(VALU_DEP_2)
	v_cvt_f32_u32_e32 v7, v7
	v_cmp_gt_f32_e32 vcc_lo, 0xf800000, v9
	s_delay_alu instid0(VALU_DEP_2) | instskip(NEXT) | instid1(VALU_DEP_1)
	v_pk_fma_f32 v[4:5], v[6:7], s[4:5], 0 op_sel_hi:[1,0,0]
	v_pk_mul_f32 v[4:5], v[4:5], v[4:5]
	s_delay_alu instid0(VALU_DEP_1) | instskip(NEXT) | instid1(VALU_DEP_1)
	v_add_f32_e32 v4, v4, v5
	v_dual_mul_f32 v6, 0x4f800000, v9 :: v_dual_mul_f32 v7, 0x4f800000, v4
	s_delay_alu instid0(VALU_DEP_1) | instskip(SKIP_1) | instid1(VALU_DEP_2)
	v_cndmask_b32_e32 v6, v9, v6, vcc_lo
	v_cmp_gt_f32_e64 s2, 0xf800000, v4
	v_sqrt_f32_e32 v5, v6
	v_nop
	s_delay_alu instid0(TRANS32_DEP_1) | instskip(NEXT) | instid1(VALU_DEP_1)
	v_dual_add_nc_u32 v9, -1, v5 :: v_dual_cndmask_b32 v4, v4, v7, s2
	v_dual_add_nc_u32 v7, 1, v5 :: v_dual_fma_f32 v10, -v9, v5, v6
	s_delay_alu instid0(VALU_DEP_2) | instskip(NEXT) | instid1(VALU_DEP_1)
	v_sqrt_f32_e32 v11, v4
	v_fma_f32 v12, -v7, v5, v6
	s_delay_alu instid0(VALU_DEP_2)
	v_cmp_ge_f32_e64 s3, 0, v10
	s_delay_alu instid0(TRANS32_DEP_1) | instid1(VALU_DEP_1)
	v_dual_cndmask_b32 v5, v5, v9, s3 :: v_dual_add_nc_u32 v9, -1, v11
	s_delay_alu instid0(VALU_DEP_3) | instskip(NEXT) | instid1(VALU_DEP_1)
	v_cmp_lt_f32_e64 s3, 0, v12
	v_cndmask_b32_e64 v5, v5, v7, s3
	s_delay_alu instid0(VALU_DEP_3) | instskip(NEXT) | instid1(VALU_DEP_1)
	v_dual_add_nc_u32 v7, 1, v11 :: v_dual_fma_f32 v10, -v9, v11, v4
	v_fma_f32 v13, -v7, v11, v4
	s_delay_alu instid0(VALU_DEP_2) | instskip(NEXT) | instid1(VALU_DEP_1)
	v_cmp_ge_f32_e64 s3, 0, v10
	v_cndmask_b32_e64 v9, v11, v9, s3
	v_mul_f32_e32 v12, 0x37800000, v5
	s_delay_alu instid0(VALU_DEP_4) | instskip(NEXT) | instid1(VALU_DEP_1)
	v_cmp_lt_f32_e64 s3, 0, v13
	v_cndmask_b32_e64 v7, v9, v7, s3
	s_delay_alu instid0(VALU_DEP_3) | instskip(SKIP_1) | instid1(VALU_DEP_2)
	v_cndmask_b32_e32 v5, v5, v12, vcc_lo
	v_cmp_class_f32_e64 vcc_lo, v6, 0x260
	v_cndmask_b32_e32 v5, v5, v6, vcc_lo
	s_delay_alu instid0(VALU_DEP_1) | instskip(SKIP_2) | instid1(VALU_DEP_2)
	v_cmp_nge_f32_e32 vcc_lo, 1.0, v5
	v_dual_cndmask_b32 v1, v8, v1 :: v_dual_mul_f32 v6, 0x37800000, v7
	v_cmp_class_f32_e64 vcc_lo, v4, 0x260
	v_dual_cndmask_b32 v5, v7, v6, s2 :: v_dual_add_f32 v6, 1.0, v1
	s_delay_alu instid0(VALU_DEP_1) | instskip(NEXT) | instid1(VALU_DEP_1)
	v_cndmask_b32_e32 v4, v5, v4, vcc_lo
	v_cmp_nge_f32_e32 vcc_lo, 1.0, v4
	s_delay_alu instid0(VALU_DEP_3)
	v_cndmask_b32_e32 v1, v6, v1, vcc_lo
	s_cbranch_scc1 .LBB27_395
; %bb.396:
	v_lshl_add_u32 v3, v2, 12, v2
	s_movk_i32 s6, 0x2710
	s_brev_b32 s4, 12
	s_delay_alu instid0(VALU_DEP_1) | instskip(NEXT) | instid1(VALU_DEP_1)
	v_add_nc_u32_e32 v2, 0x7ee55e16, v3
	v_lshrrev_b32_e32 v4, 19, v2
	s_delay_alu instid0(VALU_DEP_1) | instskip(NEXT) | instid1(VALU_DEP_1)
	v_xor3_b32 v2, v2, v4, 0xc761c23c
	v_lshl_add_u32 v2, v2, 5, v2
	s_delay_alu instid0(VALU_DEP_1) | instskip(SKIP_1) | instid1(VALU_DEP_1)
	v_add_nc_u32_e32 v4, 0xe9f8cc1d, v2
	v_lshl_add_u32 v2, v2, 9, 0xaccf6200
	v_xor_b32_e32 v2, v4, v2
	s_delay_alu instid0(VALU_DEP_1) | instskip(NEXT) | instid1(VALU_DEP_1)
	v_lshlrev_b32_e32 v4, 3, v2
	v_add3_u32 v2, v2, v4, 0xfd7046c5
	s_delay_alu instid0(VALU_DEP_1) | instskip(NEXT) | instid1(VALU_DEP_1)
	v_lshrrev_b32_e32 v4, 16, v2
	v_xor3_b32 v2, v2, v4, 0xb55a4f09
	s_delay_alu instid0(VALU_DEP_1) | instskip(NEXT) | instid1(VALU_DEP_1)
	v_mul_hi_u32 v4, v2, 3
	v_sub_nc_u32_e32 v5, v2, v4
	s_delay_alu instid0(VALU_DEP_1) | instskip(NEXT) | instid1(VALU_DEP_1)
	v_lshrrev_b32_e32 v5, 1, v5
	v_add_nc_u32_e32 v4, v5, v4
	s_delay_alu instid0(VALU_DEP_1) | instskip(NEXT) | instid1(VALU_DEP_1)
	v_lshrrev_b32_e32 v4, 30, v4
	v_mul_lo_u32 v4, 0x7fffffff, v4
	s_delay_alu instid0(VALU_DEP_1) | instskip(NEXT) | instid1(VALU_DEP_1)
	v_sub_nc_u32_e32 v2, v2, v4
	v_max_u32_e32 v4, 1, v2
	v_mov_b32_e32 v2, 0
.LBB27_397:                             ; =>This Inner Loop Header: Depth=1
	s_delay_alu instid0(VALU_DEP_2) | instskip(SKIP_1) | instid1(VALU_DEP_2)
	v_mul_hi_u32 v5, 0xbc8f1391, v4
	s_add_co_i32 s6, s6, -2
	v_add_f32_e32 v10, 1.0, v2
	s_cmp_lg_u32 s6, 0
	s_delay_alu instid0(VALU_DEP_2) | instskip(NEXT) | instid1(VALU_DEP_1)
	v_lshrrev_b32_e32 v5, 15, v5
	v_mul_u32_u24_e32 v6, 0xadc8, v5
	s_delay_alu instid0(VALU_DEP_1) | instskip(SKIP_1) | instid1(VALU_DEP_2)
	v_sub_nc_u32_e32 v4, v4, v6
	v_mul_u32_u24_e32 v5, 0xd47, v5
	v_mul_lo_u32 v4, 0xbc8f, v4
	s_delay_alu instid0(VALU_DEP_2) | instskip(SKIP_1) | instid1(VALU_DEP_3)
	v_xor_b32_e32 v6, 0x7fffffff, v5
	v_sub_nc_u32_e32 v7, 0, v5
	v_cmp_lt_u32_e32 vcc_lo, v4, v5
	s_delay_alu instid0(VALU_DEP_2) | instskip(NEXT) | instid1(VALU_DEP_1)
	v_cndmask_b32_e32 v5, v7, v6, vcc_lo
	v_add_nc_u32_e32 v4, v5, v4
	s_delay_alu instid0(VALU_DEP_1) | instskip(NEXT) | instid1(VALU_DEP_1)
	v_mul_hi_u32 v5, 0xbc8f1391, v4
	v_lshrrev_b32_e32 v5, 15, v5
	s_delay_alu instid0(VALU_DEP_1) | instskip(SKIP_1) | instid1(VALU_DEP_2)
	v_mul_u32_u24_e32 v6, 0xadc8, v5
	v_mul_u32_u24_e32 v5, 0xd47, v5
	v_sub_nc_u32_e32 v6, v4, v6
	s_delay_alu instid0(VALU_DEP_2) | instskip(SKIP_1) | instid1(VALU_DEP_3)
	v_xor_b32_e32 v7, 0x7fffffff, v5
	v_add_nc_u32_e32 v4, -1, v4
	v_mul_lo_u32 v6, 0xbc8f, v6
	v_sub_nc_u32_e32 v8, 0, v5
	s_delay_alu instid0(VALU_DEP_2) | instskip(NEXT) | instid1(VALU_DEP_2)
	v_cmp_lt_u32_e32 vcc_lo, v6, v5
	v_cndmask_b32_e32 v5, v8, v7, vcc_lo
	s_delay_alu instid0(VALU_DEP_1) | instskip(NEXT) | instid1(VALU_DEP_1)
	v_add_nc_u32_e32 v5, v5, v6
	v_mul_hi_u32 v6, 0xbc8f1391, v5
	s_delay_alu instid0(VALU_DEP_1) | instskip(NEXT) | instid1(VALU_DEP_1)
	v_lshrrev_b32_e32 v6, 15, v6
	v_mul_u32_u24_e32 v7, 0xadc8, v6
	v_mul_u32_u24_e32 v6, 0xd47, v6
	s_delay_alu instid0(VALU_DEP_2) | instskip(NEXT) | instid1(VALU_DEP_2)
	v_sub_nc_u32_e32 v7, v5, v7
	v_xor_b32_e32 v8, 0x7fffffff, v6
	v_dual_sub_nc_u32 v9, 0, v6 :: v_dual_add_nc_u32 v5, -1, v5
	s_delay_alu instid0(VALU_DEP_3) | instskip(NEXT) | instid1(VALU_DEP_1)
	v_mul_lo_u32 v7, 0xbc8f, v7
	v_cmp_lt_u32_e32 vcc_lo, v7, v6
	s_delay_alu instid0(VALU_DEP_3) | instskip(NEXT) | instid1(VALU_DEP_1)
	v_cndmask_b32_e32 v6, v9, v8, vcc_lo
	v_add_nc_u32_e32 v8, v6, v7
	s_delay_alu instid0(VALU_DEP_1) | instskip(NEXT) | instid1(VALU_DEP_1)
	v_mul_hi_u32 v6, 0xbc8f1391, v8
	v_lshrrev_b32_e32 v6, 15, v6
	s_delay_alu instid0(VALU_DEP_1) | instskip(NEXT) | instid1(VALU_DEP_1)
	v_mul_u32_u24_e32 v7, 0xadc8, v6
	v_sub_nc_u32_e32 v7, v8, v7
	s_delay_alu instid0(VALU_DEP_1) | instskip(SKIP_2) | instid1(VALU_DEP_2)
	v_mul_lo_u32 v9, 0xbc8f, v7
	v_mul_u32_u24_e32 v7, 0xd47, v6
	v_cvt_f32_u32_e32 v6, v4
	v_xor_b32_e32 v4, 0x7fffffff, v7
	v_sub_nc_u32_e32 v11, 0, v7
	v_cmp_lt_u32_e32 vcc_lo, v9, v7
	v_cvt_f32_u32_e32 v7, v5
	v_add_nc_u32_e32 v5, -1, v8
	s_delay_alu instid0(VALU_DEP_2) | instskip(NEXT) | instid1(VALU_DEP_2)
	v_pk_fma_f32 v[6:7], v[6:7], s[4:5], 0 op_sel_hi:[1,0,0]
	v_cvt_f32_u32_e32 v8, v5
	s_delay_alu instid0(VALU_DEP_2) | instskip(NEXT) | instid1(VALU_DEP_1)
	v_pk_mul_f32 v[6:7], v[6:7], v[6:7]
	v_dual_cndmask_b32 v4, v11, v4 :: v_dual_add_f32 v5, v6, v7
	s_delay_alu instid0(VALU_DEP_1) | instskip(NEXT) | instid1(VALU_DEP_2)
	v_add_nc_u32_e32 v4, v4, v9
	v_cmp_gt_f32_e32 vcc_lo, 0xf800000, v5
	s_delay_alu instid0(VALU_DEP_2) | instskip(NEXT) | instid1(VALU_DEP_1)
	v_add_nc_u32_e32 v9, -1, v4
	v_cvt_f32_u32_e32 v9, v9
	s_delay_alu instid0(VALU_DEP_1) | instskip(SKIP_1) | instid1(VALU_DEP_2)
	v_pk_fma_f32 v[6:7], v[8:9], s[4:5], 0 op_sel_hi:[1,0,0]
	v_mul_f32_e32 v8, 0x4f800000, v5
	v_pk_mul_f32 v[6:7], v[6:7], v[6:7]
	s_delay_alu instid0(VALU_DEP_1) | instskip(NEXT) | instid1(VALU_DEP_1)
	v_dual_add_f32 v6, v6, v7 :: v_dual_cndmask_b32 v5, v5, v8
	v_mul_f32_e32 v8, 0x4f800000, v6
	s_delay_alu instid0(VALU_DEP_2)
	v_sqrt_f32_e32 v7, v5
	v_cmp_gt_f32_e64 s2, 0xf800000, v6
	s_delay_alu instid0(TRANS32_DEP_1) | instid1(VALU_DEP_1)
	v_dual_cndmask_b32 v6, v6, v8, s2 :: v_dual_add_nc_u32 v9, -1, v7
	v_add_nc_u32_e32 v8, 1, v7
	s_delay_alu instid0(VALU_DEP_2) | instskip(NEXT) | instid1(VALU_DEP_2)
	v_sqrt_f32_e32 v12, v6
	v_fma_f32 v11, -v9, v7, v5
	s_delay_alu instid0(VALU_DEP_1) | instskip(NEXT) | instid1(VALU_DEP_1)
	v_cmp_ge_f32_e64 s3, 0, v11
	v_dual_fma_f32 v13, -v8, v7, v5 :: v_dual_cndmask_b32 v7, v7, v9, s3
	s_delay_alu instid0(VALU_DEP_1) | instskip(NEXT) | instid1(TRANS32_DEP_1)
	v_cmp_lt_f32_e64 s3, 0, v13
	v_add_nc_u32_e32 v9, -1, v12
	s_delay_alu instid0(VALU_DEP_2) | instskip(NEXT) | instid1(VALU_DEP_2)
	v_cndmask_b32_e64 v7, v7, v8, s3
	v_dual_add_nc_u32 v8, 1, v12 :: v_dual_fma_f32 v11, -v9, v12, v6
	s_delay_alu instid0(VALU_DEP_1) | instskip(NEXT) | instid1(VALU_DEP_2)
	v_fma_f32 v14, -v8, v12, v6
	v_cmp_ge_f32_e64 s3, 0, v11
	s_delay_alu instid0(VALU_DEP_1) | instskip(SKIP_1) | instid1(VALU_DEP_4)
	v_cndmask_b32_e64 v9, v12, v9, s3
	v_mul_f32_e32 v13, 0x37800000, v7
	v_cmp_lt_f32_e64 s3, 0, v14
	s_delay_alu instid0(VALU_DEP_1) | instskip(SKIP_1) | instid1(VALU_DEP_2)
	v_dual_cndmask_b32 v7, v7, v13, vcc_lo :: v_dual_cndmask_b32 v8, v9, v8, s3
	v_cmp_class_f32_e64 vcc_lo, v5, 0x260
	v_cndmask_b32_e32 v5, v7, v5, vcc_lo
	s_delay_alu instid0(VALU_DEP_3) | instskip(NEXT) | instid1(VALU_DEP_2)
	v_mul_f32_e32 v7, 0x37800000, v8
	v_cmp_nge_f32_e32 vcc_lo, 1.0, v5
	s_delay_alu instid0(VALU_DEP_2) | instskip(SKIP_1) | instid1(VALU_DEP_2)
	v_dual_cndmask_b32 v2, v10, v2, vcc_lo :: v_dual_cndmask_b32 v5, v8, v7, s2
	v_cmp_class_f32_e64 vcc_lo, v6, 0x260
	v_add_f32_e32 v7, 1.0, v2
	s_delay_alu instid0(VALU_DEP_3) | instskip(NEXT) | instid1(VALU_DEP_1)
	v_cndmask_b32_e32 v5, v5, v6, vcc_lo
	v_cmp_nge_f32_e32 vcc_lo, 1.0, v5
	s_delay_alu instid0(VALU_DEP_3)
	v_cndmask_b32_e32 v2, v7, v2, vcc_lo
	s_cbranch_scc1 .LBB27_397
; %bb.398:
	v_add_nc_u32_e32 v4, 0x7ef55f16, v3
	s_movk_i32 s6, 0x2710
	s_brev_b32 s4, 12
	s_delay_alu instid0(VALU_DEP_1) | instskip(NEXT) | instid1(VALU_DEP_1)
	v_lshrrev_b32_e32 v5, 19, v4
	v_xor3_b32 v4, v4, v5, 0xc761c23c
	s_delay_alu instid0(VALU_DEP_1) | instskip(NEXT) | instid1(VALU_DEP_1)
	v_lshl_add_u32 v4, v4, 5, v4
	v_add_nc_u32_e32 v5, 0xe9f8cc1d, v4
	v_lshl_add_u32 v4, v4, 9, 0xaccf6200
	s_delay_alu instid0(VALU_DEP_1) | instskip(NEXT) | instid1(VALU_DEP_1)
	v_xor_b32_e32 v4, v5, v4
	v_lshlrev_b32_e32 v5, 3, v4
	s_delay_alu instid0(VALU_DEP_1) | instskip(NEXT) | instid1(VALU_DEP_1)
	v_add3_u32 v4, v4, v5, 0xfd7046c5
	v_lshrrev_b32_e32 v5, 16, v4
	s_delay_alu instid0(VALU_DEP_1) | instskip(NEXT) | instid1(VALU_DEP_1)
	v_xor3_b32 v4, v4, v5, 0xb55a4f09
	v_mul_hi_u32 v5, v4, 3
	s_delay_alu instid0(VALU_DEP_1) | instskip(NEXT) | instid1(VALU_DEP_1)
	v_sub_nc_u32_e32 v6, v4, v5
	v_lshrrev_b32_e32 v6, 1, v6
	s_delay_alu instid0(VALU_DEP_1) | instskip(NEXT) | instid1(VALU_DEP_1)
	v_add_nc_u32_e32 v5, v6, v5
	v_lshrrev_b32_e32 v5, 30, v5
	s_delay_alu instid0(VALU_DEP_1) | instskip(NEXT) | instid1(VALU_DEP_1)
	v_mul_lo_u32 v5, 0x7fffffff, v5
	v_sub_nc_u32_e32 v4, v4, v5
	s_delay_alu instid0(VALU_DEP_1)
	v_max_u32_e32 v5, 1, v4
	v_mov_b32_e32 v4, 0
.LBB27_399:                             ; =>This Inner Loop Header: Depth=1
	s_delay_alu instid0(VALU_DEP_2) | instskip(SKIP_1) | instid1(SALU_CYCLE_1)
	v_mul_hi_u32 v6, 0xbc8f1391, v5
	s_add_co_i32 s6, s6, -2
	s_cmp_lg_u32 s6, 0
	s_delay_alu instid0(VALU_DEP_1) | instskip(NEXT) | instid1(VALU_DEP_1)
	v_lshrrev_b32_e32 v6, 15, v6
	v_mul_u32_u24_e32 v7, 0xadc8, v6
	s_delay_alu instid0(VALU_DEP_1) | instskip(SKIP_1) | instid1(VALU_DEP_2)
	v_sub_nc_u32_e32 v5, v5, v7
	v_mul_u32_u24_e32 v6, 0xd47, v6
	v_mul_lo_u32 v5, 0xbc8f, v5
	s_delay_alu instid0(VALU_DEP_2) | instskip(SKIP_1) | instid1(VALU_DEP_3)
	v_xor_b32_e32 v7, 0x7fffffff, v6
	v_sub_nc_u32_e32 v8, 0, v6
	v_cmp_lt_u32_e32 vcc_lo, v5, v6
	s_delay_alu instid0(VALU_DEP_2) | instskip(NEXT) | instid1(VALU_DEP_1)
	v_cndmask_b32_e32 v6, v8, v7, vcc_lo
	v_add_nc_u32_e32 v5, v6, v5
	s_delay_alu instid0(VALU_DEP_1) | instskip(NEXT) | instid1(VALU_DEP_1)
	v_mul_hi_u32 v6, 0xbc8f1391, v5
	v_lshrrev_b32_e32 v6, 15, v6
	s_delay_alu instid0(VALU_DEP_1) | instskip(SKIP_1) | instid1(VALU_DEP_2)
	v_mul_u32_u24_e32 v7, 0xadc8, v6
	v_mul_u32_u24_e32 v6, 0xd47, v6
	v_sub_nc_u32_e32 v7, v5, v7
	s_delay_alu instid0(VALU_DEP_2) | instskip(SKIP_1) | instid1(VALU_DEP_3)
	v_xor_b32_e32 v8, 0x7fffffff, v6
	v_add_nc_u32_e32 v5, -1, v5
	v_mul_lo_u32 v7, 0xbc8f, v7
	v_sub_nc_u32_e32 v9, 0, v6
	s_delay_alu instid0(VALU_DEP_2) | instskip(NEXT) | instid1(VALU_DEP_2)
	v_cmp_lt_u32_e32 vcc_lo, v7, v6
	v_cndmask_b32_e32 v6, v9, v8, vcc_lo
	s_delay_alu instid0(VALU_DEP_1) | instskip(NEXT) | instid1(VALU_DEP_1)
	v_add_nc_u32_e32 v7, v6, v7
	v_mul_hi_u32 v6, 0xbc8f1391, v7
	s_delay_alu instid0(VALU_DEP_1) | instskip(NEXT) | instid1(VALU_DEP_1)
	v_lshrrev_b32_e32 v6, 15, v6
	v_mul_u32_u24_e32 v8, 0xadc8, v6
	v_mul_u32_u24_e32 v6, 0xd47, v6
	s_delay_alu instid0(VALU_DEP_2) | instskip(NEXT) | instid1(VALU_DEP_2)
	v_sub_nc_u32_e32 v8, v7, v8
	v_xor_b32_e32 v9, 0x7fffffff, v6
	s_delay_alu instid0(VALU_DEP_2) | instskip(SKIP_1) | instid1(VALU_DEP_2)
	v_mul_lo_u32 v8, 0xbc8f, v8
	v_sub_nc_u32_e32 v10, 0, v6
	v_cmp_lt_u32_e32 vcc_lo, v8, v6
	s_delay_alu instid0(VALU_DEP_2) | instskip(NEXT) | instid1(VALU_DEP_1)
	v_dual_cndmask_b32 v6, v10, v9, vcc_lo :: v_dual_add_f32 v10, 1.0, v4
	v_add_nc_u32_e32 v8, v6, v8
	s_delay_alu instid0(VALU_DEP_1) | instskip(NEXT) | instid1(VALU_DEP_1)
	v_mul_hi_u32 v6, 0xbc8f1391, v8
	v_lshrrev_b32_e32 v6, 15, v6
	s_delay_alu instid0(VALU_DEP_1) | instskip(SKIP_2) | instid1(VALU_DEP_3)
	v_mul_u32_u24_e32 v9, 0xadc8, v6
	v_mul_u32_u24_e32 v11, 0xd47, v6
	v_cvt_f32_u32_e32 v6, v5
	v_sub_nc_u32_e32 v9, v8, v9
	s_delay_alu instid0(VALU_DEP_3) | instskip(SKIP_1) | instid1(VALU_DEP_3)
	v_xor_b32_e32 v5, 0x7fffffff, v11
	v_dual_sub_nc_u32 v12, 0, v11 :: v_dual_add_nc_u32 v8, -1, v8
	v_mul_lo_u32 v9, 0xbc8f, v9
	s_delay_alu instid0(VALU_DEP_2) | instskip(NEXT) | instid1(VALU_DEP_2)
	v_cvt_f32_u32_e32 v8, v8
	v_cmp_lt_u32_e32 vcc_lo, v9, v11
	s_delay_alu instid0(VALU_DEP_4) | instskip(NEXT) | instid1(VALU_DEP_1)
	v_dual_add_nc_u32 v7, -1, v7 :: v_dual_cndmask_b32 v5, v12, v5, vcc_lo
	v_cvt_f32_u32_e32 v7, v7
	s_delay_alu instid0(VALU_DEP_2) | instskip(NEXT) | instid1(VALU_DEP_2)
	v_add_nc_u32_e32 v5, v5, v9
	v_pk_fma_f32 v[6:7], v[6:7], s[4:5], 0 op_sel_hi:[1,0,0]
	s_delay_alu instid0(VALU_DEP_1) | instskip(NEXT) | instid1(VALU_DEP_1)
	v_pk_mul_f32 v[6:7], v[6:7], v[6:7]
	v_dual_add_nc_u32 v9, -1, v5 :: v_dual_add_f32 v11, v6, v7
	s_delay_alu instid0(VALU_DEP_1) | instskip(NEXT) | instid1(VALU_DEP_2)
	v_cvt_f32_u32_e32 v9, v9
	v_cmp_gt_f32_e32 vcc_lo, 0xf800000, v11
	s_delay_alu instid0(VALU_DEP_2) | instskip(NEXT) | instid1(VALU_DEP_1)
	v_pk_fma_f32 v[6:7], v[8:9], s[4:5], 0 op_sel_hi:[1,0,0]
	v_pk_mul_f32 v[6:7], v[6:7], v[6:7]
	s_delay_alu instid0(VALU_DEP_1) | instskip(NEXT) | instid1(VALU_DEP_1)
	v_add_f32_e32 v6, v6, v7
	v_dual_mul_f32 v8, 0x4f800000, v11 :: v_dual_mul_f32 v9, 0x4f800000, v6
	s_delay_alu instid0(VALU_DEP_1) | instskip(SKIP_1) | instid1(VALU_DEP_2)
	v_cndmask_b32_e32 v8, v11, v8, vcc_lo
	v_cmp_gt_f32_e64 s2, 0xf800000, v6
	v_sqrt_f32_e32 v7, v8
	v_nop
	s_delay_alu instid0(TRANS32_DEP_1) | instskip(NEXT) | instid1(VALU_DEP_1)
	v_dual_add_nc_u32 v11, -1, v7 :: v_dual_cndmask_b32 v6, v6, v9, s2
	v_dual_add_nc_u32 v9, 1, v7 :: v_dual_fma_f32 v12, -v11, v7, v8
	s_delay_alu instid0(VALU_DEP_2) | instskip(NEXT) | instid1(VALU_DEP_1)
	v_sqrt_f32_e32 v13, v6
	v_fma_f32 v14, -v9, v7, v8
	s_delay_alu instid0(VALU_DEP_2)
	v_cmp_ge_f32_e64 s3, 0, v12
	s_delay_alu instid0(TRANS32_DEP_1) | instid1(VALU_DEP_1)
	v_dual_cndmask_b32 v7, v7, v11, s3 :: v_dual_add_nc_u32 v11, -1, v13
	s_delay_alu instid0(VALU_DEP_3) | instskip(NEXT) | instid1(VALU_DEP_1)
	v_cmp_lt_f32_e64 s3, 0, v14
	v_cndmask_b32_e64 v7, v7, v9, s3
	s_delay_alu instid0(VALU_DEP_3) | instskip(NEXT) | instid1(VALU_DEP_1)
	v_dual_add_nc_u32 v9, 1, v13 :: v_dual_fma_f32 v12, -v11, v13, v6
	v_fma_f32 v15, -v9, v13, v6
	s_delay_alu instid0(VALU_DEP_2) | instskip(NEXT) | instid1(VALU_DEP_1)
	v_cmp_ge_f32_e64 s3, 0, v12
	v_cndmask_b32_e64 v11, v13, v11, s3
	v_mul_f32_e32 v14, 0x37800000, v7
	s_delay_alu instid0(VALU_DEP_4) | instskip(NEXT) | instid1(VALU_DEP_1)
	v_cmp_lt_f32_e64 s3, 0, v15
	v_cndmask_b32_e64 v9, v11, v9, s3
	s_delay_alu instid0(VALU_DEP_3) | instskip(SKIP_1) | instid1(VALU_DEP_2)
	v_cndmask_b32_e32 v7, v7, v14, vcc_lo
	v_cmp_class_f32_e64 vcc_lo, v8, 0x260
	v_cndmask_b32_e32 v7, v7, v8, vcc_lo
	s_delay_alu instid0(VALU_DEP_1) | instskip(SKIP_3) | instid1(VALU_DEP_2)
	v_cmp_nge_f32_e32 vcc_lo, 1.0, v7
	v_cndmask_b32_e32 v4, v10, v4, vcc_lo
	v_mul_f32_e32 v8, 0x37800000, v9
	v_cmp_class_f32_e64 vcc_lo, v6, 0x260
	v_cndmask_b32_e64 v7, v9, v8, s2
	s_delay_alu instid0(VALU_DEP_1) | instskip(NEXT) | instid1(VALU_DEP_1)
	v_dual_add_f32 v8, 1.0, v4 :: v_dual_cndmask_b32 v6, v7, v6, vcc_lo
	v_cmp_nge_f32_e32 vcc_lo, 1.0, v6
	s_delay_alu instid0(VALU_DEP_2)
	v_cndmask_b32_e32 v4, v8, v4, vcc_lo
	s_cbranch_scc1 .LBB27_399
; %bb.400:
	v_add_nc_u32_e32 v3, 0x7f056016, v3
	s_movk_i32 s6, 0x2710
	s_brev_b32 s4, 12
	s_delay_alu instid0(VALU_DEP_1) | instskip(NEXT) | instid1(VALU_DEP_1)
	v_lshrrev_b32_e32 v5, 19, v3
	v_xor3_b32 v3, v3, v5, 0xc761c23c
	s_delay_alu instid0(VALU_DEP_1) | instskip(NEXT) | instid1(VALU_DEP_1)
	v_lshl_add_u32 v3, v3, 5, v3
	v_add_nc_u32_e32 v5, 0xe9f8cc1d, v3
	v_lshl_add_u32 v3, v3, 9, 0xaccf6200
	s_delay_alu instid0(VALU_DEP_1) | instskip(NEXT) | instid1(VALU_DEP_1)
	v_xor_b32_e32 v3, v5, v3
	v_lshlrev_b32_e32 v5, 3, v3
	s_delay_alu instid0(VALU_DEP_1) | instskip(NEXT) | instid1(VALU_DEP_1)
	v_add3_u32 v3, v3, v5, 0xfd7046c5
	v_lshrrev_b32_e32 v5, 16, v3
	s_delay_alu instid0(VALU_DEP_1) | instskip(NEXT) | instid1(VALU_DEP_1)
	v_xor3_b32 v3, v3, v5, 0xb55a4f09
	v_mul_hi_u32 v5, v3, 3
	s_delay_alu instid0(VALU_DEP_1) | instskip(NEXT) | instid1(VALU_DEP_1)
	v_sub_nc_u32_e32 v6, v3, v5
	v_lshrrev_b32_e32 v6, 1, v6
	s_delay_alu instid0(VALU_DEP_1) | instskip(NEXT) | instid1(VALU_DEP_1)
	v_add_nc_u32_e32 v5, v6, v5
	v_lshrrev_b32_e32 v5, 30, v5
	s_delay_alu instid0(VALU_DEP_1) | instskip(NEXT) | instid1(VALU_DEP_1)
	v_mul_lo_u32 v5, 0x7fffffff, v5
	v_sub_nc_u32_e32 v3, v3, v5
	s_delay_alu instid0(VALU_DEP_1)
	v_max_u32_e32 v5, 1, v3
	v_mov_b32_e32 v3, 0
.LBB27_401:                             ; =>This Inner Loop Header: Depth=1
	s_delay_alu instid0(VALU_DEP_2) | instskip(SKIP_1) | instid1(SALU_CYCLE_1)
	v_mul_hi_u32 v6, 0xbc8f1391, v5
	s_add_co_i32 s6, s6, -2
	s_cmp_lg_u32 s6, 0
	s_delay_alu instid0(VALU_DEP_1) | instskip(NEXT) | instid1(VALU_DEP_1)
	v_lshrrev_b32_e32 v6, 15, v6
	v_mul_u32_u24_e32 v7, 0xadc8, v6
	s_delay_alu instid0(VALU_DEP_1) | instskip(SKIP_1) | instid1(VALU_DEP_2)
	v_sub_nc_u32_e32 v5, v5, v7
	v_mul_u32_u24_e32 v6, 0xd47, v6
	v_mul_lo_u32 v5, 0xbc8f, v5
	s_delay_alu instid0(VALU_DEP_2) | instskip(SKIP_1) | instid1(VALU_DEP_3)
	v_xor_b32_e32 v7, 0x7fffffff, v6
	v_sub_nc_u32_e32 v8, 0, v6
	v_cmp_lt_u32_e32 vcc_lo, v5, v6
	s_delay_alu instid0(VALU_DEP_2) | instskip(NEXT) | instid1(VALU_DEP_1)
	v_cndmask_b32_e32 v6, v8, v7, vcc_lo
	v_add_nc_u32_e32 v5, v6, v5
	s_delay_alu instid0(VALU_DEP_1) | instskip(NEXT) | instid1(VALU_DEP_1)
	v_mul_hi_u32 v6, 0xbc8f1391, v5
	v_lshrrev_b32_e32 v6, 15, v6
	s_delay_alu instid0(VALU_DEP_1) | instskip(SKIP_1) | instid1(VALU_DEP_2)
	v_mul_u32_u24_e32 v7, 0xadc8, v6
	v_mul_u32_u24_e32 v6, 0xd47, v6
	v_sub_nc_u32_e32 v7, v5, v7
	s_delay_alu instid0(VALU_DEP_2) | instskip(SKIP_1) | instid1(VALU_DEP_3)
	v_xor_b32_e32 v8, 0x7fffffff, v6
	v_add_nc_u32_e32 v5, -1, v5
	v_mul_lo_u32 v7, 0xbc8f, v7
	v_sub_nc_u32_e32 v9, 0, v6
	s_delay_alu instid0(VALU_DEP_2) | instskip(NEXT) | instid1(VALU_DEP_2)
	v_cmp_lt_u32_e32 vcc_lo, v7, v6
	v_cndmask_b32_e32 v6, v9, v8, vcc_lo
	s_delay_alu instid0(VALU_DEP_1) | instskip(NEXT) | instid1(VALU_DEP_1)
	v_add_nc_u32_e32 v7, v6, v7
	v_mul_hi_u32 v6, 0xbc8f1391, v7
	s_delay_alu instid0(VALU_DEP_1) | instskip(NEXT) | instid1(VALU_DEP_1)
	v_lshrrev_b32_e32 v6, 15, v6
	v_mul_u32_u24_e32 v8, 0xadc8, v6
	v_mul_u32_u24_e32 v6, 0xd47, v6
	s_delay_alu instid0(VALU_DEP_2) | instskip(NEXT) | instid1(VALU_DEP_2)
	v_sub_nc_u32_e32 v8, v7, v8
	v_xor_b32_e32 v9, 0x7fffffff, v6
	s_delay_alu instid0(VALU_DEP_2) | instskip(SKIP_1) | instid1(VALU_DEP_2)
	v_mul_lo_u32 v8, 0xbc8f, v8
	v_sub_nc_u32_e32 v10, 0, v6
	v_cmp_lt_u32_e32 vcc_lo, v8, v6
	s_delay_alu instid0(VALU_DEP_2) | instskip(NEXT) | instid1(VALU_DEP_1)
	v_dual_cndmask_b32 v6, v10, v9, vcc_lo :: v_dual_add_f32 v10, 1.0, v3
	v_add_nc_u32_e32 v8, v6, v8
	s_delay_alu instid0(VALU_DEP_1) | instskip(NEXT) | instid1(VALU_DEP_1)
	v_mul_hi_u32 v6, 0xbc8f1391, v8
	v_lshrrev_b32_e32 v6, 15, v6
	s_delay_alu instid0(VALU_DEP_1) | instskip(SKIP_2) | instid1(VALU_DEP_3)
	v_mul_u32_u24_e32 v9, 0xadc8, v6
	v_mul_u32_u24_e32 v11, 0xd47, v6
	v_cvt_f32_u32_e32 v6, v5
	v_sub_nc_u32_e32 v9, v8, v9
	s_delay_alu instid0(VALU_DEP_3) | instskip(SKIP_1) | instid1(VALU_DEP_3)
	v_xor_b32_e32 v5, 0x7fffffff, v11
	v_dual_sub_nc_u32 v12, 0, v11 :: v_dual_add_nc_u32 v8, -1, v8
	v_mul_lo_u32 v9, 0xbc8f, v9
	s_delay_alu instid0(VALU_DEP_2) | instskip(NEXT) | instid1(VALU_DEP_2)
	v_cvt_f32_u32_e32 v8, v8
	v_cmp_lt_u32_e32 vcc_lo, v9, v11
	s_delay_alu instid0(VALU_DEP_4) | instskip(NEXT) | instid1(VALU_DEP_1)
	v_dual_add_nc_u32 v7, -1, v7 :: v_dual_cndmask_b32 v5, v12, v5, vcc_lo
	v_cvt_f32_u32_e32 v7, v7
	s_delay_alu instid0(VALU_DEP_2) | instskip(NEXT) | instid1(VALU_DEP_2)
	v_add_nc_u32_e32 v5, v5, v9
	v_pk_fma_f32 v[6:7], v[6:7], s[4:5], 0 op_sel_hi:[1,0,0]
	s_delay_alu instid0(VALU_DEP_1) | instskip(NEXT) | instid1(VALU_DEP_1)
	v_pk_mul_f32 v[6:7], v[6:7], v[6:7]
	v_dual_add_nc_u32 v9, -1, v5 :: v_dual_add_f32 v11, v6, v7
	s_delay_alu instid0(VALU_DEP_1) | instskip(NEXT) | instid1(VALU_DEP_2)
	v_cvt_f32_u32_e32 v9, v9
	v_cmp_gt_f32_e32 vcc_lo, 0xf800000, v11
	s_delay_alu instid0(VALU_DEP_2) | instskip(NEXT) | instid1(VALU_DEP_1)
	v_pk_fma_f32 v[6:7], v[8:9], s[4:5], 0 op_sel_hi:[1,0,0]
	v_pk_mul_f32 v[6:7], v[6:7], v[6:7]
	s_delay_alu instid0(VALU_DEP_1) | instskip(NEXT) | instid1(VALU_DEP_1)
	v_add_f32_e32 v6, v6, v7
	v_dual_mul_f32 v8, 0x4f800000, v11 :: v_dual_mul_f32 v9, 0x4f800000, v6
	s_delay_alu instid0(VALU_DEP_1) | instskip(SKIP_1) | instid1(VALU_DEP_2)
	v_cndmask_b32_e32 v8, v11, v8, vcc_lo
	v_cmp_gt_f32_e64 s2, 0xf800000, v6
	v_sqrt_f32_e32 v7, v8
	v_nop
	s_delay_alu instid0(TRANS32_DEP_1) | instskip(NEXT) | instid1(VALU_DEP_1)
	v_dual_add_nc_u32 v11, -1, v7 :: v_dual_cndmask_b32 v6, v6, v9, s2
	v_dual_add_nc_u32 v9, 1, v7 :: v_dual_fma_f32 v12, -v11, v7, v8
	s_delay_alu instid0(VALU_DEP_2) | instskip(NEXT) | instid1(VALU_DEP_1)
	v_sqrt_f32_e32 v13, v6
	v_fma_f32 v14, -v9, v7, v8
	s_delay_alu instid0(VALU_DEP_2)
	v_cmp_ge_f32_e64 s3, 0, v12
	s_delay_alu instid0(TRANS32_DEP_1) | instid1(VALU_DEP_1)
	v_dual_cndmask_b32 v7, v7, v11, s3 :: v_dual_add_nc_u32 v11, -1, v13
	s_delay_alu instid0(VALU_DEP_3) | instskip(NEXT) | instid1(VALU_DEP_1)
	v_cmp_lt_f32_e64 s3, 0, v14
	v_cndmask_b32_e64 v7, v7, v9, s3
	s_delay_alu instid0(VALU_DEP_3) | instskip(NEXT) | instid1(VALU_DEP_1)
	v_dual_add_nc_u32 v9, 1, v13 :: v_dual_fma_f32 v12, -v11, v13, v6
	v_fma_f32 v15, -v9, v13, v6
	s_delay_alu instid0(VALU_DEP_2) | instskip(NEXT) | instid1(VALU_DEP_1)
	v_cmp_ge_f32_e64 s3, 0, v12
	v_cndmask_b32_e64 v11, v13, v11, s3
	v_mul_f32_e32 v14, 0x37800000, v7
	s_delay_alu instid0(VALU_DEP_4) | instskip(NEXT) | instid1(VALU_DEP_1)
	v_cmp_lt_f32_e64 s3, 0, v15
	v_cndmask_b32_e64 v9, v11, v9, s3
	s_delay_alu instid0(VALU_DEP_3) | instskip(SKIP_1) | instid1(VALU_DEP_2)
	v_cndmask_b32_e32 v7, v7, v14, vcc_lo
	v_cmp_class_f32_e64 vcc_lo, v8, 0x260
	v_cndmask_b32_e32 v7, v7, v8, vcc_lo
	s_delay_alu instid0(VALU_DEP_1) | instskip(SKIP_2) | instid1(VALU_DEP_2)
	v_cmp_nge_f32_e32 vcc_lo, 1.0, v7
	v_dual_cndmask_b32 v3, v10, v3 :: v_dual_mul_f32 v8, 0x37800000, v9
	v_cmp_class_f32_e64 vcc_lo, v6, 0x260
	v_dual_cndmask_b32 v7, v9, v8, s2 :: v_dual_add_f32 v8, 1.0, v3
	s_delay_alu instid0(VALU_DEP_1) | instskip(NEXT) | instid1(VALU_DEP_1)
	v_cndmask_b32_e32 v6, v7, v6, vcc_lo
	v_cmp_nge_f32_e32 vcc_lo, 1.0, v6
	s_delay_alu instid0(VALU_DEP_3)
	v_cndmask_b32_e32 v3, v8, v3, vcc_lo
	s_cbranch_scc1 .LBB27_401
; %bb.402:
	v_dual_mul_f32 v1, 4.0, v1 :: v_dual_mul_f32 v2, 4.0, v2
	s_delay_alu instid0(VALU_DEP_2) | instskip(NEXT) | instid1(VALU_DEP_2)
	v_dual_mul_f32 v4, 4.0, v4 :: v_dual_mul_f32 v3, 4.0, v3
	v_div_scale_f32 v5, null, 0x461c4000, 0x461c4000, v1
	s_delay_alu instid0(VALU_DEP_3) | instskip(NEXT) | instid1(VALU_DEP_3)
	v_div_scale_f32 v6, null, 0x461c4000, 0x461c4000, v2
	v_div_scale_f32 v7, null, 0x461c4000, 0x461c4000, v4
	s_delay_alu instid0(VALU_DEP_3) | instskip(NEXT) | instid1(VALU_DEP_2)
	v_rcp_f32_e32 v8, v5
	v_rcp_f32_e32 v9, v6
	v_div_scale_f32 v10, null, 0x461c4000, 0x461c4000, v3
	s_delay_alu instid0(VALU_DEP_2) | instskip(SKIP_1) | instid1(TRANS32_DEP_3)
	v_rcp_f32_e32 v12, v7
	v_div_scale_f32 v11, vcc_lo, v1, 0x461c4000, v1
	v_fma_f32 v13, -v5, v8, 1.0
	s_delay_alu instid0(TRANS32_DEP_2) | instskip(SKIP_2) | instid1(VALU_DEP_2)
	v_fma_f32 v14, -v6, v9, 1.0
	v_rcp_f32_e32 v15, v10
	v_div_scale_f32 v16, s2, v2, 0x461c4000, v2
	v_dual_fmac_f32 v8, v13, v8 :: v_dual_fmac_f32 v9, v14, v9
	v_fma_f32 v13, -v7, v12, 1.0
	s_delay_alu instid0(TRANS32_DEP_1) | instskip(NEXT) | instid1(VALU_DEP_3)
	v_fma_f32 v14, -v10, v15, 1.0
	v_dual_mul_f32 v17, v11, v8 :: v_dual_mul_f32 v18, v16, v9
	s_delay_alu instid0(VALU_DEP_3) | instskip(SKIP_1) | instid1(VALU_DEP_3)
	v_fmac_f32_e32 v12, v13, v12
	v_div_scale_f32 v13, s3, v4, 0x461c4000, v4
	v_dual_fma_f32 v19, -v5, v17, v11 :: v_dual_fma_f32 v20, -v6, v18, v16
	v_fmac_f32_e32 v15, v14, v15
	v_div_scale_f32 v14, s4, v3, 0x461c4000, v3
	s_delay_alu instid0(VALU_DEP_4) | instskip(NEXT) | instid1(VALU_DEP_4)
	v_mul_f32_e32 v21, v13, v12
	v_dual_fmac_f32 v17, v19, v8 :: v_dual_fmac_f32 v18, v20, v9
	s_delay_alu instid0(VALU_DEP_2) | instskip(NEXT) | instid1(VALU_DEP_2)
	v_dual_mul_f32 v22, v14, v15 :: v_dual_fma_f32 v19, -v7, v21, v13
	v_dual_fma_f32 v5, -v5, v17, v11 :: v_dual_fma_f32 v6, -v6, v18, v16
	s_delay_alu instid0(VALU_DEP_2) | instskip(NEXT) | instid1(VALU_DEP_2)
	v_dual_fma_f32 v20, -v10, v22, v14 :: v_dual_fmac_f32 v21, v19, v12
	v_div_fmas_f32 v5, v5, v8, v17
	s_mov_b32 vcc_lo, s2
	s_delay_alu instid0(VALU_DEP_2)
	v_fmac_f32_e32 v22, v20, v15
	v_div_fmas_f32 v6, v6, v9, v18
	v_fma_f32 v7, -v7, v21, v13
	s_mov_b32 vcc_lo, s3
	v_div_fixup_f32 v1, v5, 0x461c4000, v1
	v_fma_f32 v8, -v10, v22, v14
	v_div_fixup_f32 v2, v6, 0x461c4000, v2
	v_div_fmas_f32 v5, v7, v12, v21
	s_mov_b32 vcc_lo, s4
	s_mov_b32 s2, exec_lo
	v_div_fmas_f32 v6, v8, v15, v22
	v_add_f32_e32 v1, v1, v2
	v_div_fixup_f32 v4, v5, 0x461c4000, v4
	s_delay_alu instid0(VALU_DEP_3) | instskip(NEXT) | instid1(VALU_DEP_2)
	v_div_fixup_f32 v2, v6, 0x461c4000, v3
	v_add_f32_e32 v1, v1, v4
	s_delay_alu instid0(VALU_DEP_1) | instskip(NEXT) | instid1(VALU_DEP_1)
	v_add_f32_e32 v1, v1, v2
	v_mov_b32_dpp v2, v1 quad_perm:[1,0,3,2] row_mask:0xf bank_mask:0xf
	s_delay_alu instid0(VALU_DEP_1) | instskip(NEXT) | instid1(VALU_DEP_1)
	v_add_f32_e32 v1, v1, v2
	v_mov_b32_dpp v2, v1 quad_perm:[2,3,0,1] row_mask:0xf bank_mask:0xf
	s_delay_alu instid0(VALU_DEP_1) | instskip(NEXT) | instid1(VALU_DEP_1)
	v_add_f32_e32 v1, v1, v2
	v_mov_b32_dpp v2, v1 row_ror:4 row_mask:0xf bank_mask:0xf
	s_delay_alu instid0(VALU_DEP_1) | instskip(NEXT) | instid1(VALU_DEP_1)
	v_add_f32_e32 v1, v1, v2
	v_mov_b32_dpp v2, v1 row_ror:8 row_mask:0xf bank_mask:0xf
	s_delay_alu instid0(VALU_DEP_1)
	v_add_f32_e32 v1, v1, v2
	ds_swizzle_b32 v2, v1 offset:swizzle(BROADCAST,32,15)
	s_wait_dscnt 0x0
	v_dual_add_f32 v1, v1, v2 :: v_dual_mov_b32 v2, 0
	ds_bpermute_b32 v1, v2, v1 offset:124
	v_mbcnt_lo_u32_b32 v2, -1, 0
	s_delay_alu instid0(VALU_DEP_1)
	v_cmpx_eq_u32_e32 0, v2
	s_cbranch_execz .LBB27_404
; %bb.403:
	v_lshrrev_b32_e32 v3, 3, v0
	s_delay_alu instid0(VALU_DEP_1)
	v_and_b32_e32 v3, 28, v3
	s_wait_dscnt 0x0
	ds_store_b32 v3, v1 offset:128
.LBB27_404:
	s_or_b32 exec_lo, exec_lo, s2
	s_delay_alu instid0(SALU_CYCLE_1)
	s_mov_b32 s2, exec_lo
	s_wait_dscnt 0x0
	s_barrier_signal -1
	s_barrier_wait -1
	v_cmpx_gt_u32_e32 32, v0
	s_cbranch_execz .LBB27_406
; %bb.405:
	v_and_b32_e32 v1, 7, v2
	s_delay_alu instid0(VALU_DEP_1) | instskip(SKIP_1) | instid1(VALU_DEP_1)
	v_cmp_ne_u32_e32 vcc_lo, 7, v1
	v_add_co_ci_u32_e64 v4, null, 0, v2, vcc_lo
	v_lshlrev_b32_e32 v4, 2, v4
	v_cmp_gt_u32_e32 vcc_lo, 6, v1
	v_lshlrev_b32_e32 v3, 2, v1
	v_cndmask_b32_e64 v1, 0, 2, vcc_lo
	s_delay_alu instid0(VALU_DEP_1)
	v_add_lshl_u32 v1, v1, v2, 2
	v_lshlrev_b32_e32 v2, 2, v2
	ds_load_b32 v3, v3 offset:128
	v_or_b32_e32 v2, 16, v2
	s_wait_dscnt 0x0
	ds_bpermute_b32 v4, v4, v3
	s_wait_dscnt 0x0
	v_add_f32_e32 v3, v3, v4
	ds_bpermute_b32 v1, v1, v3
	s_wait_dscnt 0x0
	v_add_f32_e32 v1, v3, v1
	;; [unrolled: 3-line block ×3, first 2 shown]
.LBB27_406:
	s_or_b32 exec_lo, exec_lo, s2
	s_mov_b32 s2, 0
	s_branch .LBB27_412
.LBB27_407:
                                        ; implicit-def: $vgpr1
                                        ; implicit-def: $sgpr40_sgpr41
	s_cbranch_execnz .LBB27_463
	s_branch .LBB27_474
.LBB27_408:
                                        ; implicit-def: $vgpr1
                                        ; implicit-def: $sgpr40_sgpr41
	s_cbranch_execz .LBB27_410
	s_branch .LBB27_435
.LBB27_409:
                                        ; implicit-def: $vgpr1
                                        ; implicit-def: $sgpr40_sgpr41
.LBB27_410:
	s_branch .LBB27_474
.LBB27_411:
	s_mov_b32 s2, -1
                                        ; implicit-def: $vgpr1
.LBB27_412:
	s_delay_alu instid0(SALU_CYCLE_1)
	s_and_b32 vcc_lo, exec_lo, s2
	s_cbranch_vccz .LBB27_434
; %bb.413:
	v_mov_b32_e32 v2, 0
	s_sub_co_i32 s9, s36, s5
	s_mov_b32 s5, exec_lo
	s_delay_alu instid0(VALU_DEP_1)
	v_dual_mov_b32 v1, v2 :: v_dual_mov_b32 v4, v2
	v_mov_b32_e32 v3, v2
	v_cmpx_gt_u32_e64 s9, v0
	s_cbranch_execz .LBB27_417
; %bb.414:
	v_add_nc_u32_e32 v1, s7, v0
	s_movk_i32 s6, 0x2710
	s_brev_b32 s4, 12
	s_delay_alu instid0(VALU_DEP_1) | instskip(NEXT) | instid1(VALU_DEP_1)
	v_lshlrev_b32_e32 v3, 12, v1
	v_add3_u32 v1, v1, v3, 0x7ed55d16
	s_delay_alu instid0(VALU_DEP_1) | instskip(NEXT) | instid1(VALU_DEP_1)
	v_lshrrev_b32_e32 v3, 19, v1
	v_xor3_b32 v1, v1, v3, 0xc761c23c
	s_delay_alu instid0(VALU_DEP_1) | instskip(NEXT) | instid1(VALU_DEP_1)
	v_lshl_add_u32 v1, v1, 5, v1
	v_add_nc_u32_e32 v3, 0xe9f8cc1d, v1
	v_lshl_add_u32 v1, v1, 9, 0xaccf6200
	s_delay_alu instid0(VALU_DEP_1) | instskip(NEXT) | instid1(VALU_DEP_1)
	v_xor_b32_e32 v1, v3, v1
	v_lshlrev_b32_e32 v3, 3, v1
	s_delay_alu instid0(VALU_DEP_1) | instskip(NEXT) | instid1(VALU_DEP_1)
	v_add3_u32 v1, v1, v3, 0xfd7046c5
	v_lshrrev_b32_e32 v3, 16, v1
	s_delay_alu instid0(VALU_DEP_1) | instskip(NEXT) | instid1(VALU_DEP_1)
	v_xor3_b32 v1, v1, v3, 0xb55a4f09
	v_mul_hi_u32 v3, v1, 3
	s_delay_alu instid0(VALU_DEP_1) | instskip(NEXT) | instid1(VALU_DEP_1)
	v_sub_nc_u32_e32 v4, v1, v3
	v_lshrrev_b32_e32 v4, 1, v4
	s_delay_alu instid0(VALU_DEP_1) | instskip(NEXT) | instid1(VALU_DEP_1)
	v_add_nc_u32_e32 v3, v4, v3
	v_lshrrev_b32_e32 v3, 30, v3
	s_delay_alu instid0(VALU_DEP_1) | instskip(NEXT) | instid1(VALU_DEP_1)
	v_mul_lo_u32 v3, 0x7fffffff, v3
	v_sub_nc_u32_e32 v1, v1, v3
	s_delay_alu instid0(VALU_DEP_1)
	v_max_u32_e32 v1, 1, v1
.LBB27_415:                             ; =>This Inner Loop Header: Depth=1
	s_delay_alu instid0(VALU_DEP_1) | instskip(SKIP_1) | instid1(VALU_DEP_2)
	v_mul_hi_u32 v3, 0xbc8f1391, v1
	s_add_co_i32 s6, s6, -2
	v_add_f32_e32 v8, 1.0, v2
	s_cmp_lg_u32 s6, 0
	s_delay_alu instid0(VALU_DEP_2) | instskip(NEXT) | instid1(VALU_DEP_1)
	v_lshrrev_b32_e32 v3, 15, v3
	v_mul_u32_u24_e32 v4, 0xadc8, v3
	s_delay_alu instid0(VALU_DEP_1) | instskip(SKIP_1) | instid1(VALU_DEP_2)
	v_sub_nc_u32_e32 v1, v1, v4
	v_mul_u32_u24_e32 v3, 0xd47, v3
	v_mul_lo_u32 v1, 0xbc8f, v1
	s_delay_alu instid0(VALU_DEP_2) | instskip(SKIP_1) | instid1(VALU_DEP_3)
	v_xor_b32_e32 v4, 0x7fffffff, v3
	v_sub_nc_u32_e32 v5, 0, v3
	v_cmp_lt_u32_e32 vcc_lo, v1, v3
	s_delay_alu instid0(VALU_DEP_2) | instskip(NEXT) | instid1(VALU_DEP_1)
	v_cndmask_b32_e32 v3, v5, v4, vcc_lo
	v_add_nc_u32_e32 v1, v3, v1
	s_delay_alu instid0(VALU_DEP_1) | instskip(NEXT) | instid1(VALU_DEP_1)
	v_mul_hi_u32 v3, 0xbc8f1391, v1
	v_lshrrev_b32_e32 v3, 15, v3
	s_delay_alu instid0(VALU_DEP_1) | instskip(NEXT) | instid1(VALU_DEP_1)
	v_mul_u32_u24_e32 v4, 0xadc8, v3
	v_sub_nc_u32_e32 v4, v1, v4
	v_mul_u32_u24_e32 v3, 0xd47, v3
	s_delay_alu instid0(VALU_DEP_2) | instskip(NEXT) | instid1(VALU_DEP_2)
	v_mul_lo_u32 v4, 0xbc8f, v4
	v_xor_b32_e32 v5, 0x7fffffff, v3
	v_sub_nc_u32_e32 v6, 0, v3
	s_delay_alu instid0(VALU_DEP_3) | instskip(NEXT) | instid1(VALU_DEP_2)
	v_cmp_lt_u32_e32 vcc_lo, v4, v3
	v_cndmask_b32_e32 v3, v6, v5, vcc_lo
	s_delay_alu instid0(VALU_DEP_1) | instskip(NEXT) | instid1(VALU_DEP_1)
	v_dual_add_nc_u32 v3, v3, v4 :: v_dual_add_nc_u32 v1, -1, v1
	v_mul_hi_u32 v4, 0xbc8f1391, v3
	s_delay_alu instid0(VALU_DEP_1) | instskip(NEXT) | instid1(VALU_DEP_1)
	v_lshrrev_b32_e32 v4, 15, v4
	v_mul_u32_u24_e32 v5, 0xadc8, v4
	v_mul_u32_u24_e32 v4, 0xd47, v4
	s_delay_alu instid0(VALU_DEP_2) | instskip(NEXT) | instid1(VALU_DEP_2)
	v_sub_nc_u32_e32 v5, v3, v5
	v_xor_b32_e32 v6, 0x7fffffff, v4
	v_dual_sub_nc_u32 v7, 0, v4 :: v_dual_add_nc_u32 v3, -1, v3
	s_delay_alu instid0(VALU_DEP_3) | instskip(NEXT) | instid1(VALU_DEP_1)
	v_mul_lo_u32 v5, 0xbc8f, v5
	v_cmp_lt_u32_e32 vcc_lo, v5, v4
	s_delay_alu instid0(VALU_DEP_3) | instskip(NEXT) | instid1(VALU_DEP_1)
	v_cndmask_b32_e32 v4, v7, v6, vcc_lo
	v_add_nc_u32_e32 v6, v4, v5
	s_delay_alu instid0(VALU_DEP_1) | instskip(NEXT) | instid1(VALU_DEP_1)
	v_mul_hi_u32 v4, 0xbc8f1391, v6
	v_lshrrev_b32_e32 v4, 15, v4
	s_delay_alu instid0(VALU_DEP_1) | instskip(NEXT) | instid1(VALU_DEP_1)
	v_mul_u32_u24_e32 v5, 0xadc8, v4
	v_sub_nc_u32_e32 v5, v6, v5
	s_delay_alu instid0(VALU_DEP_1) | instskip(SKIP_2) | instid1(VALU_DEP_2)
	v_mul_lo_u32 v7, 0xbc8f, v5
	v_mul_u32_u24_e32 v5, 0xd47, v4
	v_cvt_f32_u32_e32 v4, v1
	v_xor_b32_e32 v1, 0x7fffffff, v5
	v_sub_nc_u32_e32 v9, 0, v5
	v_cmp_lt_u32_e32 vcc_lo, v7, v5
	v_cvt_f32_u32_e32 v5, v3
	s_delay_alu instid0(VALU_DEP_3) | instskip(NEXT) | instid1(VALU_DEP_2)
	v_dual_add_nc_u32 v3, -1, v6 :: v_dual_cndmask_b32 v1, v9, v1, vcc_lo
	v_pk_fma_f32 v[4:5], v[4:5], s[4:5], 0 op_sel_hi:[1,0,0]
	s_delay_alu instid0(VALU_DEP_2) | instskip(NEXT) | instid1(VALU_DEP_3)
	v_cvt_f32_u32_e32 v6, v3
	v_add_nc_u32_e32 v1, v1, v7
	s_delay_alu instid0(VALU_DEP_3) | instskip(NEXT) | instid1(VALU_DEP_1)
	v_pk_mul_f32 v[4:5], v[4:5], v[4:5]
	v_add_f32_e32 v3, v4, v5
	s_delay_alu instid0(VALU_DEP_3) | instskip(NEXT) | instid1(VALU_DEP_1)
	v_add_nc_u32_e32 v7, -1, v1
	v_cvt_f32_u32_e32 v7, v7
	s_delay_alu instid0(VALU_DEP_1) | instskip(NEXT) | instid1(VALU_DEP_1)
	v_pk_fma_f32 v[4:5], v[6:7], s[4:5], 0 op_sel_hi:[1,0,0]
	v_pk_mul_f32 v[4:5], v[4:5], v[4:5]
	s_delay_alu instid0(VALU_DEP_1) | instskip(SKIP_2) | instid1(VALU_DEP_3)
	v_add_f32_e32 v4, v4, v5
	v_mul_f32_e32 v6, 0x4f800000, v3
	v_cmp_gt_f32_e32 vcc_lo, 0xf800000, v3
	v_cmp_gt_f32_e64 s2, 0xf800000, v4
	s_delay_alu instid0(VALU_DEP_3) | instskip(NEXT) | instid1(VALU_DEP_1)
	v_dual_cndmask_b32 v3, v3, v6 :: v_dual_mul_f32 v6, 0x4f800000, v4
	v_sqrt_f32_e32 v5, v3
	s_delay_alu instid0(VALU_DEP_1) | instskip(NEXT) | instid1(VALU_DEP_1)
	v_cndmask_b32_e64 v4, v4, v6, s2
	v_sqrt_f32_e32 v10, v4
	s_delay_alu instid0(TRANS32_DEP_2) | instskip(NEXT) | instid1(VALU_DEP_1)
	v_dual_add_nc_u32 v7, -1, v5 :: v_dual_add_nc_u32 v6, 1, v5
	v_fma_f32 v9, -v7, v5, v3
	s_delay_alu instid0(VALU_DEP_1) | instskip(NEXT) | instid1(VALU_DEP_1)
	v_cmp_ge_f32_e64 s3, 0, v9
	v_dual_fma_f32 v11, -v6, v5, v3 :: v_dual_cndmask_b32 v5, v5, v7, s3
	s_delay_alu instid0(VALU_DEP_1) | instskip(NEXT) | instid1(TRANS32_DEP_1)
	v_cmp_lt_f32_e64 s3, 0, v11
	v_add_nc_u32_e32 v7, -1, v10
	s_delay_alu instid0(VALU_DEP_2) | instskip(NEXT) | instid1(VALU_DEP_2)
	v_cndmask_b32_e64 v5, v5, v6, s3
	v_dual_add_nc_u32 v6, 1, v10 :: v_dual_fma_f32 v9, -v7, v10, v4
	s_delay_alu instid0(VALU_DEP_1) | instskip(NEXT) | instid1(VALU_DEP_2)
	v_fma_f32 v12, -v6, v10, v4
	v_cmp_ge_f32_e64 s3, 0, v9
	s_delay_alu instid0(VALU_DEP_1) | instskip(SKIP_1) | instid1(VALU_DEP_4)
	v_cndmask_b32_e64 v7, v10, v7, s3
	v_mul_f32_e32 v11, 0x37800000, v5
	v_cmp_lt_f32_e64 s3, 0, v12
	s_delay_alu instid0(VALU_DEP_1) | instskip(SKIP_1) | instid1(VALU_DEP_2)
	v_dual_cndmask_b32 v5, v5, v11, vcc_lo :: v_dual_cndmask_b32 v6, v7, v6, s3
	v_cmp_class_f32_e64 vcc_lo, v3, 0x260
	v_cndmask_b32_e32 v3, v5, v3, vcc_lo
	s_delay_alu instid0(VALU_DEP_3) | instskip(NEXT) | instid1(VALU_DEP_2)
	v_mul_f32_e32 v5, 0x37800000, v6
	v_cmp_nge_f32_e32 vcc_lo, 1.0, v3
	s_delay_alu instid0(VALU_DEP_2) | instskip(SKIP_1) | instid1(VALU_DEP_1)
	v_dual_cndmask_b32 v2, v8, v2, vcc_lo :: v_dual_cndmask_b32 v3, v6, v5, s2
	v_cmp_class_f32_e64 vcc_lo, v4, 0x260
	v_dual_add_f32 v5, 1.0, v2 :: v_dual_cndmask_b32 v3, v3, v4, vcc_lo
	s_delay_alu instid0(VALU_DEP_1) | instskip(NEXT) | instid1(VALU_DEP_2)
	v_cmp_nge_f32_e32 vcc_lo, 1.0, v3
	v_cndmask_b32_e32 v2, v5, v2, vcc_lo
	s_cbranch_scc1 .LBB27_415
; %bb.416:
	s_delay_alu instid0(VALU_DEP_1) | instskip(NEXT) | instid1(VALU_DEP_1)
	v_mul_f32_e32 v2, 4.0, v2
	v_div_scale_f32 v1, null, 0x461c4000, 0x461c4000, v2
	s_delay_alu instid0(VALU_DEP_1) | instskip(SKIP_1) | instid1(TRANS32_DEP_1)
	v_rcp_f32_e32 v3, v1
	v_nop
	v_fma_f32 v4, -v1, v3, 1.0
	s_delay_alu instid0(VALU_DEP_1) | instskip(SKIP_1) | instid1(VALU_DEP_1)
	v_fmac_f32_e32 v3, v4, v3
	v_div_scale_f32 v5, vcc_lo, v2, 0x461c4000, v2
	v_mul_f32_e32 v4, v5, v3
	s_delay_alu instid0(VALU_DEP_1) | instskip(NEXT) | instid1(VALU_DEP_1)
	v_fma_f32 v6, -v1, v4, v5
	v_fmac_f32_e32 v4, v6, v3
	s_delay_alu instid0(VALU_DEP_1) | instskip(NEXT) | instid1(VALU_DEP_1)
	v_dual_fma_f32 v5, -v1, v4, v5 :: v_dual_mov_b32 v1, 0
	v_div_fmas_f32 v3, v5, v3, v4
	s_delay_alu instid0(VALU_DEP_2) | instskip(NEXT) | instid1(VALU_DEP_2)
	v_mov_b32_e32 v4, v1
	v_div_fixup_f32 v2, v3, 0x461c4000, v2
	v_mov_b32_e32 v3, v1
.LBB27_417:
	s_or_b32 exec_lo, exec_lo, s5
	v_or_b32_e32 v5, 0x100, v0
	s_delay_alu instid0(VALU_DEP_1)
	v_cmp_gt_u32_e64 s2, s9, v5
	s_and_saveexec_b32 s5, s2
	s_cbranch_execz .LBB27_421
; %bb.418:
	v_add_nc_u32_e32 v1, s7, v5
	s_movk_i32 s8, 0x2710
	s_brev_b32 s6, 12
	s_delay_alu instid0(VALU_DEP_1) | instskip(NEXT) | instid1(VALU_DEP_1)
	v_lshlrev_b32_e32 v5, 12, v1
	v_add3_u32 v1, v1, v5, 0x7ed55d16
	s_delay_alu instid0(VALU_DEP_1) | instskip(NEXT) | instid1(VALU_DEP_1)
	v_lshrrev_b32_e32 v5, 19, v1
	v_xor3_b32 v1, v1, v5, 0xc761c23c
	s_delay_alu instid0(VALU_DEP_1) | instskip(NEXT) | instid1(VALU_DEP_1)
	v_lshl_add_u32 v1, v1, 5, v1
	v_add_nc_u32_e32 v5, 0xe9f8cc1d, v1
	v_lshl_add_u32 v1, v1, 9, 0xaccf6200
	s_delay_alu instid0(VALU_DEP_1) | instskip(NEXT) | instid1(VALU_DEP_1)
	v_xor_b32_e32 v1, v5, v1
	v_lshlrev_b32_e32 v5, 3, v1
	s_delay_alu instid0(VALU_DEP_1) | instskip(NEXT) | instid1(VALU_DEP_1)
	v_add3_u32 v1, v1, v5, 0xfd7046c5
	v_lshrrev_b32_e32 v5, 16, v1
	s_delay_alu instid0(VALU_DEP_1) | instskip(NEXT) | instid1(VALU_DEP_1)
	v_xor3_b32 v1, v1, v5, 0xb55a4f09
	v_mul_hi_u32 v5, v1, 3
	s_delay_alu instid0(VALU_DEP_1) | instskip(NEXT) | instid1(VALU_DEP_1)
	v_sub_nc_u32_e32 v6, v1, v5
	v_lshrrev_b32_e32 v6, 1, v6
	s_delay_alu instid0(VALU_DEP_1) | instskip(NEXT) | instid1(VALU_DEP_1)
	v_add_nc_u32_e32 v5, v6, v5
	v_lshrrev_b32_e32 v5, 30, v5
	s_delay_alu instid0(VALU_DEP_1) | instskip(NEXT) | instid1(VALU_DEP_1)
	v_mul_lo_u32 v5, 0x7fffffff, v5
	v_sub_nc_u32_e32 v1, v1, v5
	s_delay_alu instid0(VALU_DEP_1)
	v_max_u32_e32 v5, 1, v1
	v_mov_b32_e32 v1, 0
.LBB27_419:                             ; =>This Inner Loop Header: Depth=1
	s_delay_alu instid0(VALU_DEP_2) | instskip(SKIP_1) | instid1(SALU_CYCLE_1)
	v_mul_hi_u32 v6, 0xbc8f1391, v5
	s_add_co_i32 s8, s8, -2
	s_cmp_lg_u32 s8, 0
	s_delay_alu instid0(VALU_DEP_1) | instskip(NEXT) | instid1(VALU_DEP_1)
	v_lshrrev_b32_e32 v6, 15, v6
	v_mul_u32_u24_e32 v7, 0xadc8, v6
	s_delay_alu instid0(VALU_DEP_1) | instskip(SKIP_1) | instid1(VALU_DEP_2)
	v_sub_nc_u32_e32 v5, v5, v7
	v_mul_u32_u24_e32 v6, 0xd47, v6
	v_mul_lo_u32 v5, 0xbc8f, v5
	s_delay_alu instid0(VALU_DEP_2) | instskip(SKIP_1) | instid1(VALU_DEP_3)
	v_xor_b32_e32 v7, 0x7fffffff, v6
	v_sub_nc_u32_e32 v8, 0, v6
	v_cmp_lt_u32_e32 vcc_lo, v5, v6
	s_delay_alu instid0(VALU_DEP_2) | instskip(NEXT) | instid1(VALU_DEP_1)
	v_cndmask_b32_e32 v6, v8, v7, vcc_lo
	v_add_nc_u32_e32 v5, v6, v5
	s_delay_alu instid0(VALU_DEP_1) | instskip(NEXT) | instid1(VALU_DEP_1)
	v_mul_hi_u32 v6, 0xbc8f1391, v5
	v_lshrrev_b32_e32 v6, 15, v6
	s_delay_alu instid0(VALU_DEP_1) | instskip(SKIP_1) | instid1(VALU_DEP_2)
	v_mul_u32_u24_e32 v7, 0xadc8, v6
	v_mul_u32_u24_e32 v6, 0xd47, v6
	v_sub_nc_u32_e32 v7, v5, v7
	s_delay_alu instid0(VALU_DEP_2) | instskip(SKIP_1) | instid1(VALU_DEP_3)
	v_xor_b32_e32 v8, 0x7fffffff, v6
	v_add_nc_u32_e32 v5, -1, v5
	v_mul_lo_u32 v7, 0xbc8f, v7
	v_sub_nc_u32_e32 v9, 0, v6
	s_delay_alu instid0(VALU_DEP_2) | instskip(NEXT) | instid1(VALU_DEP_2)
	v_cmp_lt_u32_e32 vcc_lo, v7, v6
	v_cndmask_b32_e32 v6, v9, v8, vcc_lo
	s_delay_alu instid0(VALU_DEP_1) | instskip(NEXT) | instid1(VALU_DEP_1)
	v_add_nc_u32_e32 v7, v6, v7
	v_mul_hi_u32 v6, 0xbc8f1391, v7
	s_delay_alu instid0(VALU_DEP_1) | instskip(NEXT) | instid1(VALU_DEP_1)
	v_lshrrev_b32_e32 v6, 15, v6
	v_mul_u32_u24_e32 v8, 0xadc8, v6
	v_mul_u32_u24_e32 v6, 0xd47, v6
	s_delay_alu instid0(VALU_DEP_2) | instskip(NEXT) | instid1(VALU_DEP_2)
	v_sub_nc_u32_e32 v8, v7, v8
	v_xor_b32_e32 v9, 0x7fffffff, v6
	s_delay_alu instid0(VALU_DEP_2) | instskip(SKIP_1) | instid1(VALU_DEP_2)
	v_mul_lo_u32 v8, 0xbc8f, v8
	v_sub_nc_u32_e32 v10, 0, v6
	v_cmp_lt_u32_e32 vcc_lo, v8, v6
	s_delay_alu instid0(VALU_DEP_2) | instskip(NEXT) | instid1(VALU_DEP_1)
	v_cndmask_b32_e32 v6, v10, v9, vcc_lo
	v_dual_add_f32 v10, 1.0, v1 :: v_dual_add_nc_u32 v8, v6, v8
	s_delay_alu instid0(VALU_DEP_1) | instskip(NEXT) | instid1(VALU_DEP_1)
	v_mul_hi_u32 v6, 0xbc8f1391, v8
	v_lshrrev_b32_e32 v6, 15, v6
	s_delay_alu instid0(VALU_DEP_1) | instskip(SKIP_2) | instid1(VALU_DEP_3)
	v_mul_u32_u24_e32 v9, 0xadc8, v6
	v_mul_u32_u24_e32 v11, 0xd47, v6
	v_cvt_f32_u32_e32 v6, v5
	v_sub_nc_u32_e32 v9, v8, v9
	s_delay_alu instid0(VALU_DEP_3) | instskip(SKIP_1) | instid1(VALU_DEP_3)
	v_xor_b32_e32 v5, 0x7fffffff, v11
	v_dual_sub_nc_u32 v12, 0, v11 :: v_dual_add_nc_u32 v8, -1, v8
	v_mul_lo_u32 v9, 0xbc8f, v9
	s_delay_alu instid0(VALU_DEP_2) | instskip(NEXT) | instid1(VALU_DEP_2)
	v_cvt_f32_u32_e32 v8, v8
	v_cmp_lt_u32_e32 vcc_lo, v9, v11
	s_delay_alu instid0(VALU_DEP_4) | instskip(NEXT) | instid1(VALU_DEP_1)
	v_dual_add_nc_u32 v7, -1, v7 :: v_dual_cndmask_b32 v5, v12, v5, vcc_lo
	v_cvt_f32_u32_e32 v7, v7
	s_delay_alu instid0(VALU_DEP_2) | instskip(NEXT) | instid1(VALU_DEP_2)
	v_add_nc_u32_e32 v5, v5, v9
	v_pk_fma_f32 v[6:7], v[6:7], s[6:7], 0 op_sel_hi:[1,0,0]
	s_delay_alu instid0(VALU_DEP_1) | instskip(NEXT) | instid1(VALU_DEP_1)
	v_pk_mul_f32 v[6:7], v[6:7], v[6:7]
	v_dual_add_nc_u32 v9, -1, v5 :: v_dual_add_f32 v11, v6, v7
	s_delay_alu instid0(VALU_DEP_1) | instskip(NEXT) | instid1(VALU_DEP_2)
	v_cvt_f32_u32_e32 v9, v9
	v_cmp_gt_f32_e32 vcc_lo, 0xf800000, v11
	s_delay_alu instid0(VALU_DEP_2) | instskip(NEXT) | instid1(VALU_DEP_1)
	v_pk_fma_f32 v[6:7], v[8:9], s[6:7], 0 op_sel_hi:[1,0,0]
	v_pk_mul_f32 v[6:7], v[6:7], v[6:7]
	s_delay_alu instid0(VALU_DEP_1) | instskip(NEXT) | instid1(VALU_DEP_1)
	v_add_f32_e32 v6, v6, v7
	v_dual_mul_f32 v8, 0x4f800000, v11 :: v_dual_mul_f32 v9, 0x4f800000, v6
	s_delay_alu instid0(VALU_DEP_1) | instskip(SKIP_1) | instid1(VALU_DEP_2)
	v_cndmask_b32_e32 v8, v11, v8, vcc_lo
	v_cmp_gt_f32_e64 s3, 0xf800000, v6
	v_sqrt_f32_e32 v7, v8
	v_nop
	s_delay_alu instid0(TRANS32_DEP_1) | instskip(NEXT) | instid1(VALU_DEP_1)
	v_dual_add_nc_u32 v11, -1, v7 :: v_dual_cndmask_b32 v6, v6, v9, s3
	v_dual_add_nc_u32 v9, 1, v7 :: v_dual_fma_f32 v12, -v11, v7, v8
	s_delay_alu instid0(VALU_DEP_2) | instskip(NEXT) | instid1(VALU_DEP_1)
	v_sqrt_f32_e32 v13, v6
	v_fma_f32 v14, -v9, v7, v8
	s_delay_alu instid0(VALU_DEP_2)
	v_cmp_ge_f32_e64 s4, 0, v12
	s_delay_alu instid0(TRANS32_DEP_1) | instid1(VALU_DEP_1)
	v_dual_cndmask_b32 v7, v7, v11, s4 :: v_dual_add_nc_u32 v11, -1, v13
	s_delay_alu instid0(VALU_DEP_3) | instskip(NEXT) | instid1(VALU_DEP_1)
	v_cmp_lt_f32_e64 s4, 0, v14
	v_cndmask_b32_e64 v7, v7, v9, s4
	s_delay_alu instid0(VALU_DEP_3) | instskip(NEXT) | instid1(VALU_DEP_1)
	v_dual_add_nc_u32 v9, 1, v13 :: v_dual_fma_f32 v12, -v11, v13, v6
	v_fma_f32 v15, -v9, v13, v6
	s_delay_alu instid0(VALU_DEP_2) | instskip(NEXT) | instid1(VALU_DEP_1)
	v_cmp_ge_f32_e64 s4, 0, v12
	v_cndmask_b32_e64 v11, v13, v11, s4
	v_mul_f32_e32 v14, 0x37800000, v7
	s_delay_alu instid0(VALU_DEP_4) | instskip(NEXT) | instid1(VALU_DEP_1)
	v_cmp_lt_f32_e64 s4, 0, v15
	v_cndmask_b32_e64 v9, v11, v9, s4
	s_delay_alu instid0(VALU_DEP_3) | instskip(SKIP_1) | instid1(VALU_DEP_2)
	v_cndmask_b32_e32 v7, v7, v14, vcc_lo
	v_cmp_class_f32_e64 vcc_lo, v8, 0x260
	v_dual_cndmask_b32 v7, v7, v8 :: v_dual_mul_f32 v8, 0x37800000, v9
	s_delay_alu instid0(VALU_DEP_1) | instskip(NEXT) | instid1(VALU_DEP_2)
	v_cmp_nge_f32_e32 vcc_lo, 1.0, v7
	v_dual_cndmask_b32 v7, v9, v8, s3 :: v_dual_cndmask_b32 v1, v10, v1, vcc_lo
	v_cmp_class_f32_e64 vcc_lo, v6, 0x260
	s_delay_alu instid0(VALU_DEP_1) | instskip(NEXT) | instid1(VALU_DEP_1)
	v_dual_add_f32 v8, 1.0, v1 :: v_dual_cndmask_b32 v6, v7, v6, vcc_lo
	v_cmp_nge_f32_e32 vcc_lo, 1.0, v6
	s_delay_alu instid0(VALU_DEP_2)
	v_cndmask_b32_e32 v1, v8, v1, vcc_lo
	s_cbranch_scc1 .LBB27_419
; %bb.420:
	s_delay_alu instid0(VALU_DEP_1) | instskip(NEXT) | instid1(VALU_DEP_1)
	v_mul_f32_e32 v1, 4.0, v1
	v_div_scale_f32 v5, null, 0x461c4000, 0x461c4000, v1
	s_delay_alu instid0(VALU_DEP_1) | instskip(SKIP_1) | instid1(TRANS32_DEP_1)
	v_rcp_f32_e32 v6, v5
	v_nop
	v_fma_f32 v7, -v5, v6, 1.0
	s_delay_alu instid0(VALU_DEP_1) | instskip(SKIP_1) | instid1(VALU_DEP_1)
	v_fmac_f32_e32 v6, v7, v6
	v_div_scale_f32 v7, vcc_lo, v1, 0x461c4000, v1
	v_mul_f32_e32 v8, v7, v6
	s_delay_alu instid0(VALU_DEP_1) | instskip(NEXT) | instid1(VALU_DEP_1)
	v_fma_f32 v9, -v5, v8, v7
	v_fmac_f32_e32 v8, v9, v6
	s_delay_alu instid0(VALU_DEP_1) | instskip(NEXT) | instid1(VALU_DEP_1)
	v_fma_f32 v5, -v5, v8, v7
	v_div_fmas_f32 v5, v5, v6, v8
	s_delay_alu instid0(VALU_DEP_1)
	v_div_fixup_f32 v1, v5, 0x461c4000, v1
.LBB27_421:
	s_or_b32 exec_lo, exec_lo, s5
	v_or_b32_e32 v5, 0x200, v0
	s_delay_alu instid0(VALU_DEP_1)
	v_cmp_gt_u32_e64 s3, s9, v5
	s_and_saveexec_b32 s8, s3
	s_cbranch_execz .LBB27_425
; %bb.422:
	v_add_nc_u32_e32 v4, s7, v5
	s_movk_i32 s10, 0x2710
	s_brev_b32 s6, 12
	s_delay_alu instid0(VALU_DEP_1) | instskip(NEXT) | instid1(VALU_DEP_1)
	v_lshlrev_b32_e32 v5, 12, v4
	v_add3_u32 v4, v4, v5, 0x7ed55d16
	s_delay_alu instid0(VALU_DEP_1) | instskip(NEXT) | instid1(VALU_DEP_1)
	v_lshrrev_b32_e32 v5, 19, v4
	v_xor3_b32 v4, v4, v5, 0xc761c23c
	s_delay_alu instid0(VALU_DEP_1) | instskip(NEXT) | instid1(VALU_DEP_1)
	v_lshl_add_u32 v4, v4, 5, v4
	v_add_nc_u32_e32 v5, 0xe9f8cc1d, v4
	v_lshl_add_u32 v4, v4, 9, 0xaccf6200
	s_delay_alu instid0(VALU_DEP_1) | instskip(NEXT) | instid1(VALU_DEP_1)
	v_xor_b32_e32 v4, v5, v4
	v_lshlrev_b32_e32 v5, 3, v4
	s_delay_alu instid0(VALU_DEP_1) | instskip(NEXT) | instid1(VALU_DEP_1)
	v_add3_u32 v4, v4, v5, 0xfd7046c5
	v_lshrrev_b32_e32 v5, 16, v4
	s_delay_alu instid0(VALU_DEP_1) | instskip(NEXT) | instid1(VALU_DEP_1)
	v_xor3_b32 v4, v4, v5, 0xb55a4f09
	v_mul_hi_u32 v5, v4, 3
	s_delay_alu instid0(VALU_DEP_1) | instskip(NEXT) | instid1(VALU_DEP_1)
	v_sub_nc_u32_e32 v6, v4, v5
	v_lshrrev_b32_e32 v6, 1, v6
	s_delay_alu instid0(VALU_DEP_1) | instskip(NEXT) | instid1(VALU_DEP_1)
	v_add_nc_u32_e32 v5, v6, v5
	v_lshrrev_b32_e32 v5, 30, v5
	s_delay_alu instid0(VALU_DEP_1) | instskip(NEXT) | instid1(VALU_DEP_1)
	v_mul_lo_u32 v5, 0x7fffffff, v5
	v_sub_nc_u32_e32 v4, v4, v5
	s_delay_alu instid0(VALU_DEP_1)
	v_max_u32_e32 v5, 1, v4
	v_mov_b32_e32 v4, 0
.LBB27_423:                             ; =>This Inner Loop Header: Depth=1
	s_delay_alu instid0(VALU_DEP_2) | instskip(SKIP_1) | instid1(SALU_CYCLE_1)
	v_mul_hi_u32 v6, 0xbc8f1391, v5
	s_add_co_i32 s10, s10, -2
	s_cmp_lg_u32 s10, 0
	s_delay_alu instid0(VALU_DEP_1) | instskip(NEXT) | instid1(VALU_DEP_1)
	v_lshrrev_b32_e32 v6, 15, v6
	v_mul_u32_u24_e32 v7, 0xadc8, v6
	s_delay_alu instid0(VALU_DEP_1) | instskip(SKIP_1) | instid1(VALU_DEP_2)
	v_sub_nc_u32_e32 v5, v5, v7
	v_mul_u32_u24_e32 v6, 0xd47, v6
	v_mul_lo_u32 v5, 0xbc8f, v5
	s_delay_alu instid0(VALU_DEP_2) | instskip(SKIP_1) | instid1(VALU_DEP_3)
	v_xor_b32_e32 v7, 0x7fffffff, v6
	v_sub_nc_u32_e32 v8, 0, v6
	v_cmp_lt_u32_e32 vcc_lo, v5, v6
	s_delay_alu instid0(VALU_DEP_2) | instskip(NEXT) | instid1(VALU_DEP_1)
	v_cndmask_b32_e32 v6, v8, v7, vcc_lo
	v_add_nc_u32_e32 v5, v6, v5
	s_delay_alu instid0(VALU_DEP_1) | instskip(NEXT) | instid1(VALU_DEP_1)
	v_mul_hi_u32 v6, 0xbc8f1391, v5
	v_lshrrev_b32_e32 v6, 15, v6
	s_delay_alu instid0(VALU_DEP_1) | instskip(SKIP_1) | instid1(VALU_DEP_2)
	v_mul_u32_u24_e32 v7, 0xadc8, v6
	v_mul_u32_u24_e32 v6, 0xd47, v6
	v_sub_nc_u32_e32 v7, v5, v7
	s_delay_alu instid0(VALU_DEP_2) | instskip(SKIP_1) | instid1(VALU_DEP_3)
	v_xor_b32_e32 v8, 0x7fffffff, v6
	v_add_nc_u32_e32 v5, -1, v5
	v_mul_lo_u32 v7, 0xbc8f, v7
	v_sub_nc_u32_e32 v9, 0, v6
	s_delay_alu instid0(VALU_DEP_2) | instskip(NEXT) | instid1(VALU_DEP_2)
	v_cmp_lt_u32_e32 vcc_lo, v7, v6
	v_cndmask_b32_e32 v6, v9, v8, vcc_lo
	s_delay_alu instid0(VALU_DEP_1) | instskip(NEXT) | instid1(VALU_DEP_1)
	v_add_nc_u32_e32 v7, v6, v7
	v_mul_hi_u32 v6, 0xbc8f1391, v7
	s_delay_alu instid0(VALU_DEP_1) | instskip(NEXT) | instid1(VALU_DEP_1)
	v_lshrrev_b32_e32 v6, 15, v6
	v_mul_u32_u24_e32 v8, 0xadc8, v6
	v_mul_u32_u24_e32 v6, 0xd47, v6
	s_delay_alu instid0(VALU_DEP_2) | instskip(NEXT) | instid1(VALU_DEP_2)
	v_sub_nc_u32_e32 v8, v7, v8
	v_xor_b32_e32 v9, 0x7fffffff, v6
	s_delay_alu instid0(VALU_DEP_2) | instskip(SKIP_1) | instid1(VALU_DEP_2)
	v_mul_lo_u32 v8, 0xbc8f, v8
	v_sub_nc_u32_e32 v10, 0, v6
	v_cmp_lt_u32_e32 vcc_lo, v8, v6
	s_delay_alu instid0(VALU_DEP_2) | instskip(NEXT) | instid1(VALU_DEP_1)
	v_dual_cndmask_b32 v6, v10, v9, vcc_lo :: v_dual_add_f32 v10, 1.0, v4
	v_add_nc_u32_e32 v8, v6, v8
	s_delay_alu instid0(VALU_DEP_1) | instskip(NEXT) | instid1(VALU_DEP_1)
	v_mul_hi_u32 v6, 0xbc8f1391, v8
	v_lshrrev_b32_e32 v6, 15, v6
	s_delay_alu instid0(VALU_DEP_1) | instskip(SKIP_2) | instid1(VALU_DEP_3)
	v_mul_u32_u24_e32 v9, 0xadc8, v6
	v_mul_u32_u24_e32 v11, 0xd47, v6
	v_cvt_f32_u32_e32 v6, v5
	v_sub_nc_u32_e32 v9, v8, v9
	s_delay_alu instid0(VALU_DEP_3) | instskip(SKIP_1) | instid1(VALU_DEP_3)
	v_xor_b32_e32 v5, 0x7fffffff, v11
	v_dual_sub_nc_u32 v12, 0, v11 :: v_dual_add_nc_u32 v8, -1, v8
	v_mul_lo_u32 v9, 0xbc8f, v9
	s_delay_alu instid0(VALU_DEP_2) | instskip(NEXT) | instid1(VALU_DEP_2)
	v_cvt_f32_u32_e32 v8, v8
	v_cmp_lt_u32_e32 vcc_lo, v9, v11
	s_delay_alu instid0(VALU_DEP_4) | instskip(NEXT) | instid1(VALU_DEP_1)
	v_dual_add_nc_u32 v7, -1, v7 :: v_dual_cndmask_b32 v5, v12, v5, vcc_lo
	v_cvt_f32_u32_e32 v7, v7
	s_delay_alu instid0(VALU_DEP_2) | instskip(NEXT) | instid1(VALU_DEP_2)
	v_add_nc_u32_e32 v5, v5, v9
	v_pk_fma_f32 v[6:7], v[6:7], s[6:7], 0 op_sel_hi:[1,0,0]
	s_delay_alu instid0(VALU_DEP_1) | instskip(NEXT) | instid1(VALU_DEP_1)
	v_pk_mul_f32 v[6:7], v[6:7], v[6:7]
	v_dual_add_nc_u32 v9, -1, v5 :: v_dual_add_f32 v11, v6, v7
	s_delay_alu instid0(VALU_DEP_1) | instskip(NEXT) | instid1(VALU_DEP_2)
	v_cvt_f32_u32_e32 v9, v9
	v_cmp_gt_f32_e32 vcc_lo, 0xf800000, v11
	s_delay_alu instid0(VALU_DEP_2) | instskip(NEXT) | instid1(VALU_DEP_1)
	v_pk_fma_f32 v[6:7], v[8:9], s[6:7], 0 op_sel_hi:[1,0,0]
	v_pk_mul_f32 v[6:7], v[6:7], v[6:7]
	s_delay_alu instid0(VALU_DEP_1) | instskip(NEXT) | instid1(VALU_DEP_1)
	v_add_f32_e32 v6, v6, v7
	v_dual_mul_f32 v8, 0x4f800000, v11 :: v_dual_mul_f32 v9, 0x4f800000, v6
	s_delay_alu instid0(VALU_DEP_1) | instskip(SKIP_1) | instid1(VALU_DEP_2)
	v_cndmask_b32_e32 v8, v11, v8, vcc_lo
	v_cmp_gt_f32_e64 s4, 0xf800000, v6
	v_sqrt_f32_e32 v7, v8
	v_nop
	s_delay_alu instid0(TRANS32_DEP_1) | instskip(NEXT) | instid1(VALU_DEP_1)
	v_dual_add_nc_u32 v11, -1, v7 :: v_dual_cndmask_b32 v6, v6, v9, s4
	v_dual_add_nc_u32 v9, 1, v7 :: v_dual_fma_f32 v12, -v11, v7, v8
	s_delay_alu instid0(VALU_DEP_2) | instskip(NEXT) | instid1(VALU_DEP_1)
	v_sqrt_f32_e32 v13, v6
	v_fma_f32 v14, -v9, v7, v8
	s_delay_alu instid0(VALU_DEP_2)
	v_cmp_ge_f32_e64 s5, 0, v12
	s_delay_alu instid0(TRANS32_DEP_1) | instid1(VALU_DEP_1)
	v_dual_cndmask_b32 v7, v7, v11, s5 :: v_dual_add_nc_u32 v11, -1, v13
	s_delay_alu instid0(VALU_DEP_3) | instskip(NEXT) | instid1(VALU_DEP_1)
	v_cmp_lt_f32_e64 s5, 0, v14
	v_cndmask_b32_e64 v7, v7, v9, s5
	s_delay_alu instid0(VALU_DEP_3) | instskip(NEXT) | instid1(VALU_DEP_1)
	v_dual_add_nc_u32 v9, 1, v13 :: v_dual_fma_f32 v12, -v11, v13, v6
	v_fma_f32 v15, -v9, v13, v6
	s_delay_alu instid0(VALU_DEP_2) | instskip(NEXT) | instid1(VALU_DEP_1)
	v_cmp_ge_f32_e64 s5, 0, v12
	v_cndmask_b32_e64 v11, v13, v11, s5
	v_mul_f32_e32 v14, 0x37800000, v7
	s_delay_alu instid0(VALU_DEP_4) | instskip(NEXT) | instid1(VALU_DEP_1)
	v_cmp_lt_f32_e64 s5, 0, v15
	v_cndmask_b32_e64 v9, v11, v9, s5
	s_delay_alu instid0(VALU_DEP_3) | instskip(SKIP_1) | instid1(VALU_DEP_2)
	v_cndmask_b32_e32 v7, v7, v14, vcc_lo
	v_cmp_class_f32_e64 vcc_lo, v8, 0x260
	v_cndmask_b32_e32 v7, v7, v8, vcc_lo
	s_delay_alu instid0(VALU_DEP_1) | instskip(SKIP_3) | instid1(VALU_DEP_2)
	v_cmp_nge_f32_e32 vcc_lo, 1.0, v7
	v_cndmask_b32_e32 v4, v10, v4, vcc_lo
	v_mul_f32_e32 v8, 0x37800000, v9
	v_cmp_class_f32_e64 vcc_lo, v6, 0x260
	v_cndmask_b32_e64 v7, v9, v8, s4
	s_delay_alu instid0(VALU_DEP_1) | instskip(NEXT) | instid1(VALU_DEP_1)
	v_dual_add_f32 v8, 1.0, v4 :: v_dual_cndmask_b32 v6, v7, v6, vcc_lo
	v_cmp_nge_f32_e32 vcc_lo, 1.0, v6
	s_delay_alu instid0(VALU_DEP_2)
	v_cndmask_b32_e32 v4, v8, v4, vcc_lo
	s_cbranch_scc1 .LBB27_423
; %bb.424:
	s_delay_alu instid0(VALU_DEP_1) | instskip(NEXT) | instid1(VALU_DEP_1)
	v_mul_f32_e32 v4, 4.0, v4
	v_div_scale_f32 v5, null, 0x461c4000, 0x461c4000, v4
	s_delay_alu instid0(VALU_DEP_1) | instskip(SKIP_1) | instid1(TRANS32_DEP_1)
	v_rcp_f32_e32 v6, v5
	v_nop
	v_fma_f32 v7, -v5, v6, 1.0
	s_delay_alu instid0(VALU_DEP_1) | instskip(SKIP_1) | instid1(VALU_DEP_1)
	v_fmac_f32_e32 v6, v7, v6
	v_div_scale_f32 v7, vcc_lo, v4, 0x461c4000, v4
	v_mul_f32_e32 v8, v7, v6
	s_delay_alu instid0(VALU_DEP_1) | instskip(NEXT) | instid1(VALU_DEP_1)
	v_fma_f32 v9, -v5, v8, v7
	v_fmac_f32_e32 v8, v9, v6
	s_delay_alu instid0(VALU_DEP_1) | instskip(NEXT) | instid1(VALU_DEP_1)
	v_fma_f32 v5, -v5, v8, v7
	v_div_fmas_f32 v5, v5, v6, v8
	s_delay_alu instid0(VALU_DEP_1)
	v_div_fixup_f32 v4, v5, 0x461c4000, v4
.LBB27_425:
	s_or_b32 exec_lo, exec_lo, s8
	v_or_b32_e32 v5, 0x300, v0
	s_delay_alu instid0(VALU_DEP_1)
	v_cmp_gt_u32_e64 s4, s9, v5
	s_and_saveexec_b32 s10, s4
	s_cbranch_execz .LBB27_429
; %bb.426:
	v_add_nc_u32_e32 v3, s7, v5
	s_movk_i32 s7, 0x2710
	s_brev_b32 s8, 12
	s_delay_alu instid0(VALU_DEP_1) | instskip(NEXT) | instid1(VALU_DEP_1)
	v_lshlrev_b32_e32 v5, 12, v3
	v_add3_u32 v3, v3, v5, 0x7ed55d16
	s_delay_alu instid0(VALU_DEP_1) | instskip(NEXT) | instid1(VALU_DEP_1)
	v_lshrrev_b32_e32 v5, 19, v3
	v_xor3_b32 v3, v3, v5, 0xc761c23c
	s_delay_alu instid0(VALU_DEP_1) | instskip(NEXT) | instid1(VALU_DEP_1)
	v_lshl_add_u32 v3, v3, 5, v3
	v_add_nc_u32_e32 v5, 0xe9f8cc1d, v3
	v_lshl_add_u32 v3, v3, 9, 0xaccf6200
	s_delay_alu instid0(VALU_DEP_1) | instskip(NEXT) | instid1(VALU_DEP_1)
	v_xor_b32_e32 v3, v5, v3
	v_lshlrev_b32_e32 v5, 3, v3
	s_delay_alu instid0(VALU_DEP_1) | instskip(NEXT) | instid1(VALU_DEP_1)
	v_add3_u32 v3, v3, v5, 0xfd7046c5
	v_lshrrev_b32_e32 v5, 16, v3
	s_delay_alu instid0(VALU_DEP_1) | instskip(NEXT) | instid1(VALU_DEP_1)
	v_xor3_b32 v3, v3, v5, 0xb55a4f09
	v_mul_hi_u32 v5, v3, 3
	s_delay_alu instid0(VALU_DEP_1) | instskip(NEXT) | instid1(VALU_DEP_1)
	v_sub_nc_u32_e32 v6, v3, v5
	v_lshrrev_b32_e32 v6, 1, v6
	s_delay_alu instid0(VALU_DEP_1) | instskip(NEXT) | instid1(VALU_DEP_1)
	v_add_nc_u32_e32 v5, v6, v5
	v_lshrrev_b32_e32 v5, 30, v5
	s_delay_alu instid0(VALU_DEP_1) | instskip(NEXT) | instid1(VALU_DEP_1)
	v_mul_lo_u32 v5, 0x7fffffff, v5
	v_sub_nc_u32_e32 v3, v3, v5
	s_delay_alu instid0(VALU_DEP_1)
	v_max_u32_e32 v5, 1, v3
	v_mov_b32_e32 v3, 0
.LBB27_427:                             ; =>This Inner Loop Header: Depth=1
	s_delay_alu instid0(VALU_DEP_2) | instskip(SKIP_1) | instid1(SALU_CYCLE_1)
	v_mul_hi_u32 v6, 0xbc8f1391, v5
	s_add_co_i32 s7, s7, -2
	s_cmp_lg_u32 s7, 0
	s_delay_alu instid0(VALU_DEP_1) | instskip(NEXT) | instid1(VALU_DEP_1)
	v_lshrrev_b32_e32 v6, 15, v6
	v_mul_u32_u24_e32 v7, 0xadc8, v6
	s_delay_alu instid0(VALU_DEP_1) | instskip(SKIP_1) | instid1(VALU_DEP_2)
	v_sub_nc_u32_e32 v5, v5, v7
	v_mul_u32_u24_e32 v6, 0xd47, v6
	v_mul_lo_u32 v5, 0xbc8f, v5
	s_delay_alu instid0(VALU_DEP_2) | instskip(SKIP_1) | instid1(VALU_DEP_3)
	v_xor_b32_e32 v7, 0x7fffffff, v6
	v_sub_nc_u32_e32 v8, 0, v6
	v_cmp_lt_u32_e32 vcc_lo, v5, v6
	s_delay_alu instid0(VALU_DEP_2) | instskip(NEXT) | instid1(VALU_DEP_1)
	v_cndmask_b32_e32 v6, v8, v7, vcc_lo
	v_add_nc_u32_e32 v5, v6, v5
	s_delay_alu instid0(VALU_DEP_1) | instskip(NEXT) | instid1(VALU_DEP_1)
	v_mul_hi_u32 v6, 0xbc8f1391, v5
	v_lshrrev_b32_e32 v6, 15, v6
	s_delay_alu instid0(VALU_DEP_1) | instskip(SKIP_1) | instid1(VALU_DEP_2)
	v_mul_u32_u24_e32 v7, 0xadc8, v6
	v_mul_u32_u24_e32 v6, 0xd47, v6
	v_sub_nc_u32_e32 v7, v5, v7
	s_delay_alu instid0(VALU_DEP_2) | instskip(SKIP_1) | instid1(VALU_DEP_3)
	v_xor_b32_e32 v8, 0x7fffffff, v6
	v_add_nc_u32_e32 v5, -1, v5
	v_mul_lo_u32 v7, 0xbc8f, v7
	v_sub_nc_u32_e32 v9, 0, v6
	s_delay_alu instid0(VALU_DEP_2) | instskip(NEXT) | instid1(VALU_DEP_2)
	v_cmp_lt_u32_e32 vcc_lo, v7, v6
	v_cndmask_b32_e32 v6, v9, v8, vcc_lo
	s_delay_alu instid0(VALU_DEP_1) | instskip(NEXT) | instid1(VALU_DEP_1)
	v_add_nc_u32_e32 v7, v6, v7
	v_mul_hi_u32 v6, 0xbc8f1391, v7
	s_delay_alu instid0(VALU_DEP_1) | instskip(NEXT) | instid1(VALU_DEP_1)
	v_lshrrev_b32_e32 v6, 15, v6
	v_mul_u32_u24_e32 v8, 0xadc8, v6
	v_mul_u32_u24_e32 v6, 0xd47, v6
	s_delay_alu instid0(VALU_DEP_2) | instskip(NEXT) | instid1(VALU_DEP_2)
	v_sub_nc_u32_e32 v8, v7, v8
	v_xor_b32_e32 v9, 0x7fffffff, v6
	s_delay_alu instid0(VALU_DEP_2) | instskip(SKIP_1) | instid1(VALU_DEP_2)
	v_mul_lo_u32 v8, 0xbc8f, v8
	v_sub_nc_u32_e32 v10, 0, v6
	v_cmp_lt_u32_e32 vcc_lo, v8, v6
	s_delay_alu instid0(VALU_DEP_2) | instskip(NEXT) | instid1(VALU_DEP_1)
	v_dual_cndmask_b32 v6, v10, v9, vcc_lo :: v_dual_add_f32 v10, 1.0, v3
	v_add_nc_u32_e32 v8, v6, v8
	s_delay_alu instid0(VALU_DEP_1) | instskip(NEXT) | instid1(VALU_DEP_1)
	v_mul_hi_u32 v6, 0xbc8f1391, v8
	v_lshrrev_b32_e32 v6, 15, v6
	s_delay_alu instid0(VALU_DEP_1) | instskip(SKIP_2) | instid1(VALU_DEP_3)
	v_mul_u32_u24_e32 v9, 0xadc8, v6
	v_mul_u32_u24_e32 v11, 0xd47, v6
	v_cvt_f32_u32_e32 v6, v5
	v_sub_nc_u32_e32 v9, v8, v9
	s_delay_alu instid0(VALU_DEP_3) | instskip(SKIP_1) | instid1(VALU_DEP_3)
	v_xor_b32_e32 v5, 0x7fffffff, v11
	v_dual_sub_nc_u32 v12, 0, v11 :: v_dual_add_nc_u32 v8, -1, v8
	v_mul_lo_u32 v9, 0xbc8f, v9
	s_delay_alu instid0(VALU_DEP_2) | instskip(NEXT) | instid1(VALU_DEP_2)
	v_cvt_f32_u32_e32 v8, v8
	v_cmp_lt_u32_e32 vcc_lo, v9, v11
	s_delay_alu instid0(VALU_DEP_4) | instskip(NEXT) | instid1(VALU_DEP_1)
	v_dual_add_nc_u32 v7, -1, v7 :: v_dual_cndmask_b32 v5, v12, v5, vcc_lo
	v_cvt_f32_u32_e32 v7, v7
	s_delay_alu instid0(VALU_DEP_2) | instskip(NEXT) | instid1(VALU_DEP_2)
	v_add_nc_u32_e32 v5, v5, v9
	v_pk_fma_f32 v[6:7], v[6:7], s[8:9], 0 op_sel_hi:[1,0,0]
	s_delay_alu instid0(VALU_DEP_1) | instskip(NEXT) | instid1(VALU_DEP_1)
	v_pk_mul_f32 v[6:7], v[6:7], v[6:7]
	v_dual_add_nc_u32 v9, -1, v5 :: v_dual_add_f32 v11, v6, v7
	s_delay_alu instid0(VALU_DEP_1) | instskip(NEXT) | instid1(VALU_DEP_2)
	v_cvt_f32_u32_e32 v9, v9
	v_cmp_gt_f32_e32 vcc_lo, 0xf800000, v11
	s_delay_alu instid0(VALU_DEP_2) | instskip(NEXT) | instid1(VALU_DEP_1)
	v_pk_fma_f32 v[6:7], v[8:9], s[8:9], 0 op_sel_hi:[1,0,0]
	v_pk_mul_f32 v[6:7], v[6:7], v[6:7]
	s_delay_alu instid0(VALU_DEP_1) | instskip(NEXT) | instid1(VALU_DEP_1)
	v_add_f32_e32 v6, v6, v7
	v_dual_mul_f32 v8, 0x4f800000, v11 :: v_dual_mul_f32 v9, 0x4f800000, v6
	s_delay_alu instid0(VALU_DEP_1) | instskip(SKIP_1) | instid1(VALU_DEP_2)
	v_cndmask_b32_e32 v8, v11, v8, vcc_lo
	v_cmp_gt_f32_e64 s5, 0xf800000, v6
	v_sqrt_f32_e32 v7, v8
	v_nop
	s_delay_alu instid0(TRANS32_DEP_1) | instskip(NEXT) | instid1(VALU_DEP_1)
	v_dual_add_nc_u32 v11, -1, v7 :: v_dual_cndmask_b32 v6, v6, v9, s5
	v_dual_add_nc_u32 v9, 1, v7 :: v_dual_fma_f32 v12, -v11, v7, v8
	s_delay_alu instid0(VALU_DEP_2) | instskip(NEXT) | instid1(VALU_DEP_1)
	v_sqrt_f32_e32 v13, v6
	v_fma_f32 v14, -v9, v7, v8
	s_delay_alu instid0(VALU_DEP_2)
	v_cmp_ge_f32_e64 s6, 0, v12
	s_delay_alu instid0(TRANS32_DEP_1) | instid1(VALU_DEP_1)
	v_dual_cndmask_b32 v7, v7, v11, s6 :: v_dual_add_nc_u32 v11, -1, v13
	s_delay_alu instid0(VALU_DEP_3) | instskip(NEXT) | instid1(VALU_DEP_1)
	v_cmp_lt_f32_e64 s6, 0, v14
	v_cndmask_b32_e64 v7, v7, v9, s6
	s_delay_alu instid0(VALU_DEP_3) | instskip(NEXT) | instid1(VALU_DEP_1)
	v_dual_add_nc_u32 v9, 1, v13 :: v_dual_fma_f32 v12, -v11, v13, v6
	v_fma_f32 v15, -v9, v13, v6
	s_delay_alu instid0(VALU_DEP_2) | instskip(NEXT) | instid1(VALU_DEP_1)
	v_cmp_ge_f32_e64 s6, 0, v12
	v_cndmask_b32_e64 v11, v13, v11, s6
	v_mul_f32_e32 v14, 0x37800000, v7
	s_delay_alu instid0(VALU_DEP_4) | instskip(NEXT) | instid1(VALU_DEP_1)
	v_cmp_lt_f32_e64 s6, 0, v15
	v_cndmask_b32_e64 v9, v11, v9, s6
	s_delay_alu instid0(VALU_DEP_3) | instskip(SKIP_1) | instid1(VALU_DEP_2)
	v_cndmask_b32_e32 v7, v7, v14, vcc_lo
	v_cmp_class_f32_e64 vcc_lo, v8, 0x260
	v_cndmask_b32_e32 v7, v7, v8, vcc_lo
	s_delay_alu instid0(VALU_DEP_1) | instskip(SKIP_2) | instid1(VALU_DEP_2)
	v_cmp_nge_f32_e32 vcc_lo, 1.0, v7
	v_dual_cndmask_b32 v3, v10, v3 :: v_dual_mul_f32 v8, 0x37800000, v9
	v_cmp_class_f32_e64 vcc_lo, v6, 0x260
	v_dual_cndmask_b32 v7, v9, v8, s5 :: v_dual_add_f32 v8, 1.0, v3
	s_delay_alu instid0(VALU_DEP_1) | instskip(NEXT) | instid1(VALU_DEP_1)
	v_cndmask_b32_e32 v6, v7, v6, vcc_lo
	v_cmp_nge_f32_e32 vcc_lo, 1.0, v6
	s_delay_alu instid0(VALU_DEP_3)
	v_cndmask_b32_e32 v3, v8, v3, vcc_lo
	s_cbranch_scc1 .LBB27_427
; %bb.428:
	s_delay_alu instid0(VALU_DEP_1) | instskip(NEXT) | instid1(VALU_DEP_1)
	v_mul_f32_e32 v3, 4.0, v3
	v_div_scale_f32 v5, null, 0x461c4000, 0x461c4000, v3
	s_delay_alu instid0(VALU_DEP_1) | instskip(SKIP_1) | instid1(TRANS32_DEP_1)
	v_rcp_f32_e32 v6, v5
	v_nop
	v_fma_f32 v7, -v5, v6, 1.0
	s_delay_alu instid0(VALU_DEP_1) | instskip(SKIP_1) | instid1(VALU_DEP_1)
	v_fmac_f32_e32 v6, v7, v6
	v_div_scale_f32 v7, vcc_lo, v3, 0x461c4000, v3
	v_mul_f32_e32 v8, v7, v6
	s_delay_alu instid0(VALU_DEP_1) | instskip(NEXT) | instid1(VALU_DEP_1)
	v_fma_f32 v9, -v5, v8, v7
	v_fmac_f32_e32 v8, v9, v6
	s_delay_alu instid0(VALU_DEP_1) | instskip(NEXT) | instid1(VALU_DEP_1)
	v_fma_f32 v5, -v5, v8, v7
	v_div_fmas_f32 v5, v5, v6, v8
	s_delay_alu instid0(VALU_DEP_1)
	v_div_fixup_f32 v3, v5, 0x461c4000, v3
.LBB27_429:
	s_or_b32 exec_lo, exec_lo, s10
	v_add_f32_e32 v1, v2, v1
	s_delay_alu instid0(VALU_DEP_1) | instskip(SKIP_1) | instid1(VALU_DEP_1)
	v_cndmask_b32_e64 v1, v2, v1, s2
	v_mbcnt_lo_u32_b32 v2, -1, 0
	v_dual_add_nc_u32 v6, 1, v2 :: v_dual_add_f32 v4, v4, v1
	v_cmp_ne_u32_e32 vcc_lo, 31, v2
	v_cmp_gt_u32_e64 s2, 28, v2
	s_delay_alu instid0(VALU_DEP_3)
	v_dual_add_nc_u32 v7, 2, v2 :: v_dual_cndmask_b32 v1, v1, v4, s3
	v_add_co_ci_u32_e64 v4, null, 0, v2, vcc_lo
	s_min_u32 s3, s9, 0x100
	v_cmp_gt_u32_e32 vcc_lo, 30, v2
	v_dual_add_f32 v3, v3, v1 :: v_dual_lshlrev_b32 v4, 2, v4
	v_cndmask_b32_e64 v5, 0, 2, vcc_lo
	s_delay_alu instid0(VALU_DEP_2) | instskip(NEXT) | instid1(VALU_DEP_2)
	v_cndmask_b32_e64 v1, v1, v3, s4
	v_add_lshl_u32 v5, v5, v2, 2
	ds_bpermute_b32 v3, v4, v1
	v_and_b32_e32 v4, 0xe0, v0
	s_delay_alu instid0(VALU_DEP_1) | instskip(NEXT) | instid1(VALU_DEP_1)
	v_sub_nc_u32_e64 v4, s3, v4 clamp
	v_cmp_lt_u32_e32 vcc_lo, v6, v4
	v_cndmask_b32_e64 v6, 0, 4, s2
	v_cmp_lt_u32_e64 s2, v7, v4
	v_add_nc_u32_e32 v7, 4, v2
	s_delay_alu instid0(VALU_DEP_3) | instskip(SKIP_2) | instid1(VALU_DEP_1)
	v_add_lshl_u32 v6, v6, v2, 2
	s_wait_dscnt 0x0
	v_add_f32_e32 v3, v1, v3
	v_cndmask_b32_e32 v3, v1, v3, vcc_lo
	ds_bpermute_b32 v5, v5, v3
	s_wait_dscnt 0x0
	v_add_f32_e32 v5, v3, v5
	s_delay_alu instid0(VALU_DEP_1)
	v_cndmask_b32_e64 v3, v3, v5, s2
	v_cmp_gt_u32_e64 s2, 24, v2
	ds_bpermute_b32 v5, v6, v3
	v_cndmask_b32_e64 v6, 0, 8, s2
	v_cmp_lt_u32_e64 s2, v7, v4
	v_add_nc_u32_e32 v7, 8, v2
	s_delay_alu instid0(VALU_DEP_3) | instskip(SKIP_2) | instid1(VALU_DEP_1)
	v_add_lshl_u32 v6, v6, v2, 2
	s_wait_dscnt 0x0
	v_add_f32_e32 v5, v3, v5
	v_dual_cndmask_b32 v5, v3, v5, s2 :: v_dual_lshlrev_b32 v3, 2, v2
	v_cmp_lt_u32_e64 s2, v7, v4
	s_delay_alu instid0(VALU_DEP_2) | instskip(SKIP_3) | instid1(VALU_DEP_1)
	v_dual_add_nc_u32 v7, 16, v2 :: v_dual_bitop2_b32 v8, 64, v3 bitop3:0x54
	ds_bpermute_b32 v6, v6, v5
	s_wait_dscnt 0x0
	v_add_f32_e32 v6, v5, v6
	v_cndmask_b32_e64 v5, v5, v6, s2
	v_cmp_lt_u32_e64 s2, v7, v4
	ds_bpermute_b32 v6, v8, v5
	s_wait_dscnt 0x0
	v_add_f32_e32 v6, v5, v6
	s_delay_alu instid0(VALU_DEP_1) | instskip(SKIP_1) | instid1(VALU_DEP_1)
	v_cndmask_b32_e64 v4, v5, v6, s2
	s_mov_b32 s2, exec_lo
	v_cndmask_b32_e32 v1, v1, v4, vcc_lo
	v_cmpx_eq_u32_e32 0, v2
; %bb.430:
	v_lshrrev_b32_e32 v4, 3, v0
	s_delay_alu instid0(VALU_DEP_1)
	v_and_b32_e32 v4, 28, v4
	ds_store_b32 v4, v1 offset:192
; %bb.431:
	s_or_b32 exec_lo, exec_lo, s2
	s_delay_alu instid0(SALU_CYCLE_1)
	s_mov_b32 s4, exec_lo
	s_wait_dscnt 0x0
	s_barrier_signal -1
	s_barrier_wait -1
	v_cmpx_gt_u32_e32 8, v0
	s_cbranch_execz .LBB27_433
; %bb.432:
	ds_load_b32 v1, v3 offset:192
	v_and_b32_e32 v4, 7, v2
	s_add_co_i32 s3, s3, 31
	v_or_b32_e32 v3, 16, v3
	s_lshr_b32 s3, s3, 5
	s_delay_alu instid0(VALU_DEP_2) | instskip(SKIP_1) | instid1(VALU_DEP_1)
	v_cmp_ne_u32_e32 vcc_lo, 7, v4
	v_add_co_ci_u32_e64 v5, null, 0, v2, vcc_lo
	v_lshlrev_b32_e32 v5, 2, v5
	v_cmp_gt_u32_e32 vcc_lo, 6, v4
	s_wait_dscnt 0x0
	ds_bpermute_b32 v5, v5, v1
	v_add_nc_u32_e32 v7, 1, v4
	v_cndmask_b32_e64 v6, 0, 2, vcc_lo
	s_delay_alu instid0(VALU_DEP_1) | instskip(SKIP_1) | instid1(VALU_DEP_1)
	v_add_lshl_u32 v2, v6, v2, 2
	v_dual_add_nc_u32 v6, 2, v4 :: v_dual_add_nc_u32 v4, 4, v4
	v_cmp_gt_u32_e64 s2, s3, v6
	s_wait_dscnt 0x0
	v_add_f32_e32 v5, v1, v5
	v_cmp_gt_u32_e32 vcc_lo, s3, v7
	s_delay_alu instid0(VALU_DEP_2) | instskip(SKIP_3) | instid1(VALU_DEP_1)
	v_cndmask_b32_e32 v5, v1, v5, vcc_lo
	ds_bpermute_b32 v2, v2, v5
	s_wait_dscnt 0x0
	v_add_f32_e32 v2, v5, v2
	v_cndmask_b32_e64 v2, v5, v2, s2
	v_cmp_gt_u32_e64 s2, s3, v4
	ds_bpermute_b32 v3, v3, v2
	s_wait_dscnt 0x0
	v_add_f32_e32 v3, v2, v3
	s_delay_alu instid0(VALU_DEP_1) | instskip(NEXT) | instid1(VALU_DEP_1)
	v_cndmask_b32_e64 v2, v2, v3, s2
	v_cndmask_b32_e32 v1, v1, v2, vcc_lo
.LBB27_433:
	s_or_b32 exec_lo, exec_lo, s4
.LBB27_434:
	v_cmp_eq_u32_e64 s2, 0, v0
	s_branch .LBB27_410
.LBB27_435:
	s_cmp_eq_u32 s42, 2
	s_cbranch_scc0 .LBB27_446
; %bb.436:
	s_bfe_u32 s2, ttmp6, 0x4000c
	s_and_b32 s3, ttmp6, 15
	s_add_co_i32 s2, s2, 1
	s_getreg_b32 s4, hwreg(HW_REG_IB_STS2, 6, 4)
	s_mul_i32 s2, ttmp9, s2
	s_mov_b32 s41, 0
	s_add_co_i32 s3, s3, s2
	s_cmp_eq_u32 s4, 0
	s_cselect_b32 s40, ttmp9, s3
	s_lshr_b64 s[2:3], s[36:37], 9
	s_lshl_b32 s6, s40, 9
	s_delay_alu instid0(SALU_CYCLE_1)
	s_add_co_i32 s5, s43, s6
	s_cmp_lg_u64 s[2:3], s[40:41]
	s_cbranch_scc0 .LBB27_447
; %bb.437:
	v_add_nc_u32_e32 v2, s5, v0
	s_movk_i32 s7, 0x2710
	s_brev_b32 s4, 12
	s_delay_alu instid0(VALU_DEP_1) | instskip(NEXT) | instid1(VALU_DEP_1)
	v_lshlrev_b32_e32 v1, 12, v2
	v_add3_u32 v1, v2, v1, 0x7ed55d16
	s_delay_alu instid0(VALU_DEP_1) | instskip(NEXT) | instid1(VALU_DEP_1)
	v_lshrrev_b32_e32 v3, 19, v1
	v_xor3_b32 v1, v1, v3, 0xc761c23c
	s_delay_alu instid0(VALU_DEP_1) | instskip(NEXT) | instid1(VALU_DEP_1)
	v_lshl_add_u32 v1, v1, 5, v1
	v_add_nc_u32_e32 v3, 0xe9f8cc1d, v1
	v_lshl_add_u32 v1, v1, 9, 0xaccf6200
	s_delay_alu instid0(VALU_DEP_1) | instskip(NEXT) | instid1(VALU_DEP_1)
	v_xor_b32_e32 v1, v3, v1
	v_lshlrev_b32_e32 v3, 3, v1
	s_delay_alu instid0(VALU_DEP_1) | instskip(NEXT) | instid1(VALU_DEP_1)
	v_add3_u32 v1, v1, v3, 0xfd7046c5
	v_lshrrev_b32_e32 v3, 16, v1
	s_delay_alu instid0(VALU_DEP_1) | instskip(NEXT) | instid1(VALU_DEP_1)
	v_xor3_b32 v1, v1, v3, 0xb55a4f09
	v_mul_hi_u32 v3, v1, 3
	s_delay_alu instid0(VALU_DEP_1) | instskip(NEXT) | instid1(VALU_DEP_1)
	v_sub_nc_u32_e32 v4, v1, v3
	v_lshrrev_b32_e32 v4, 1, v4
	s_delay_alu instid0(VALU_DEP_1) | instskip(NEXT) | instid1(VALU_DEP_1)
	v_add_nc_u32_e32 v3, v4, v3
	v_lshrrev_b32_e32 v3, 30, v3
	s_delay_alu instid0(VALU_DEP_1) | instskip(NEXT) | instid1(VALU_DEP_1)
	v_mul_lo_u32 v3, 0x7fffffff, v3
	v_sub_nc_u32_e32 v1, v1, v3
	s_delay_alu instid0(VALU_DEP_1)
	v_max_u32_e32 v3, 1, v1
	v_mov_b32_e32 v1, 0
.LBB27_438:                             ; =>This Inner Loop Header: Depth=1
	s_delay_alu instid0(VALU_DEP_2) | instskip(SKIP_1) | instid1(SALU_CYCLE_1)
	v_mul_hi_u32 v4, 0xbc8f1391, v3
	s_add_co_i32 s7, s7, -2
	s_cmp_lg_u32 s7, 0
	s_delay_alu instid0(VALU_DEP_1) | instskip(NEXT) | instid1(VALU_DEP_1)
	v_lshrrev_b32_e32 v4, 15, v4
	v_mul_u32_u24_e32 v5, 0xadc8, v4
	s_delay_alu instid0(VALU_DEP_1) | instskip(SKIP_1) | instid1(VALU_DEP_2)
	v_sub_nc_u32_e32 v3, v3, v5
	v_mul_u32_u24_e32 v4, 0xd47, v4
	v_mul_lo_u32 v3, 0xbc8f, v3
	s_delay_alu instid0(VALU_DEP_2) | instskip(SKIP_1) | instid1(VALU_DEP_3)
	v_xor_b32_e32 v5, 0x7fffffff, v4
	v_sub_nc_u32_e32 v6, 0, v4
	v_cmp_lt_u32_e32 vcc_lo, v3, v4
	s_delay_alu instid0(VALU_DEP_2) | instskip(NEXT) | instid1(VALU_DEP_1)
	v_cndmask_b32_e32 v4, v6, v5, vcc_lo
	v_add_nc_u32_e32 v3, v4, v3
	s_delay_alu instid0(VALU_DEP_1) | instskip(NEXT) | instid1(VALU_DEP_1)
	v_mul_hi_u32 v4, 0xbc8f1391, v3
	v_lshrrev_b32_e32 v4, 15, v4
	s_delay_alu instid0(VALU_DEP_1) | instskip(SKIP_1) | instid1(VALU_DEP_2)
	v_mul_u32_u24_e32 v5, 0xadc8, v4
	v_mul_u32_u24_e32 v4, 0xd47, v4
	v_sub_nc_u32_e32 v5, v3, v5
	s_delay_alu instid0(VALU_DEP_2) | instskip(SKIP_1) | instid1(VALU_DEP_3)
	v_xor_b32_e32 v6, 0x7fffffff, v4
	v_add_nc_u32_e32 v3, -1, v3
	v_mul_lo_u32 v5, 0xbc8f, v5
	v_sub_nc_u32_e32 v7, 0, v4
	s_delay_alu instid0(VALU_DEP_2) | instskip(NEXT) | instid1(VALU_DEP_2)
	v_cmp_lt_u32_e32 vcc_lo, v5, v4
	v_cndmask_b32_e32 v4, v7, v6, vcc_lo
	s_delay_alu instid0(VALU_DEP_1) | instskip(NEXT) | instid1(VALU_DEP_1)
	v_add_nc_u32_e32 v5, v4, v5
	v_mul_hi_u32 v4, 0xbc8f1391, v5
	s_delay_alu instid0(VALU_DEP_1) | instskip(NEXT) | instid1(VALU_DEP_1)
	v_lshrrev_b32_e32 v4, 15, v4
	v_mul_u32_u24_e32 v6, 0xadc8, v4
	v_mul_u32_u24_e32 v4, 0xd47, v4
	s_delay_alu instid0(VALU_DEP_2) | instskip(NEXT) | instid1(VALU_DEP_2)
	v_sub_nc_u32_e32 v6, v5, v6
	v_xor_b32_e32 v7, 0x7fffffff, v4
	s_delay_alu instid0(VALU_DEP_2) | instskip(SKIP_1) | instid1(VALU_DEP_2)
	v_mul_lo_u32 v6, 0xbc8f, v6
	v_sub_nc_u32_e32 v8, 0, v4
	v_cmp_lt_u32_e32 vcc_lo, v6, v4
	s_delay_alu instid0(VALU_DEP_2) | instskip(NEXT) | instid1(VALU_DEP_1)
	v_dual_cndmask_b32 v4, v8, v7, vcc_lo :: v_dual_add_f32 v8, 1.0, v1
	v_add_nc_u32_e32 v6, v4, v6
	s_delay_alu instid0(VALU_DEP_1) | instskip(NEXT) | instid1(VALU_DEP_1)
	v_mul_hi_u32 v4, 0xbc8f1391, v6
	v_lshrrev_b32_e32 v4, 15, v4
	s_delay_alu instid0(VALU_DEP_1) | instskip(SKIP_2) | instid1(VALU_DEP_3)
	v_mul_u32_u24_e32 v7, 0xadc8, v4
	v_mul_u32_u24_e32 v9, 0xd47, v4
	v_cvt_f32_u32_e32 v4, v3
	v_sub_nc_u32_e32 v7, v6, v7
	s_delay_alu instid0(VALU_DEP_3) | instskip(SKIP_1) | instid1(VALU_DEP_3)
	v_xor_b32_e32 v3, 0x7fffffff, v9
	v_dual_sub_nc_u32 v10, 0, v9 :: v_dual_add_nc_u32 v6, -1, v6
	v_mul_lo_u32 v7, 0xbc8f, v7
	s_delay_alu instid0(VALU_DEP_2) | instskip(NEXT) | instid1(VALU_DEP_2)
	v_cvt_f32_u32_e32 v6, v6
	v_cmp_lt_u32_e32 vcc_lo, v7, v9
	s_delay_alu instid0(VALU_DEP_4) | instskip(NEXT) | instid1(VALU_DEP_1)
	v_dual_add_nc_u32 v5, -1, v5 :: v_dual_cndmask_b32 v3, v10, v3, vcc_lo
	v_cvt_f32_u32_e32 v5, v5
	s_delay_alu instid0(VALU_DEP_2) | instskip(NEXT) | instid1(VALU_DEP_2)
	v_add_nc_u32_e32 v3, v3, v7
	v_pk_fma_f32 v[4:5], v[4:5], s[4:5], 0 op_sel_hi:[1,0,0]
	s_delay_alu instid0(VALU_DEP_1) | instskip(NEXT) | instid1(VALU_DEP_1)
	v_pk_mul_f32 v[4:5], v[4:5], v[4:5]
	v_dual_add_nc_u32 v7, -1, v3 :: v_dual_add_f32 v9, v4, v5
	s_delay_alu instid0(VALU_DEP_1) | instskip(NEXT) | instid1(VALU_DEP_2)
	v_cvt_f32_u32_e32 v7, v7
	v_cmp_gt_f32_e32 vcc_lo, 0xf800000, v9
	s_delay_alu instid0(VALU_DEP_2) | instskip(NEXT) | instid1(VALU_DEP_1)
	v_pk_fma_f32 v[4:5], v[6:7], s[4:5], 0 op_sel_hi:[1,0,0]
	v_pk_mul_f32 v[4:5], v[4:5], v[4:5]
	s_delay_alu instid0(VALU_DEP_1) | instskip(NEXT) | instid1(VALU_DEP_1)
	v_add_f32_e32 v4, v4, v5
	v_dual_mul_f32 v6, 0x4f800000, v9 :: v_dual_mul_f32 v7, 0x4f800000, v4
	s_delay_alu instid0(VALU_DEP_1) | instskip(SKIP_1) | instid1(VALU_DEP_2)
	v_cndmask_b32_e32 v6, v9, v6, vcc_lo
	v_cmp_gt_f32_e64 s2, 0xf800000, v4
	v_sqrt_f32_e32 v5, v6
	v_nop
	s_delay_alu instid0(TRANS32_DEP_1) | instskip(NEXT) | instid1(VALU_DEP_1)
	v_dual_add_nc_u32 v9, -1, v5 :: v_dual_cndmask_b32 v4, v4, v7, s2
	v_dual_add_nc_u32 v7, 1, v5 :: v_dual_fma_f32 v10, -v9, v5, v6
	s_delay_alu instid0(VALU_DEP_2) | instskip(NEXT) | instid1(VALU_DEP_1)
	v_sqrt_f32_e32 v11, v4
	v_fma_f32 v12, -v7, v5, v6
	s_delay_alu instid0(VALU_DEP_2)
	v_cmp_ge_f32_e64 s3, 0, v10
	s_delay_alu instid0(TRANS32_DEP_1) | instid1(VALU_DEP_1)
	v_dual_cndmask_b32 v5, v5, v9, s3 :: v_dual_add_nc_u32 v9, -1, v11
	s_delay_alu instid0(VALU_DEP_3) | instskip(NEXT) | instid1(VALU_DEP_1)
	v_cmp_lt_f32_e64 s3, 0, v12
	v_cndmask_b32_e64 v5, v5, v7, s3
	s_delay_alu instid0(VALU_DEP_3) | instskip(NEXT) | instid1(VALU_DEP_1)
	v_dual_add_nc_u32 v7, 1, v11 :: v_dual_fma_f32 v10, -v9, v11, v4
	v_fma_f32 v13, -v7, v11, v4
	s_delay_alu instid0(VALU_DEP_2) | instskip(NEXT) | instid1(VALU_DEP_1)
	v_cmp_ge_f32_e64 s3, 0, v10
	v_cndmask_b32_e64 v9, v11, v9, s3
	v_mul_f32_e32 v12, 0x37800000, v5
	s_delay_alu instid0(VALU_DEP_4) | instskip(NEXT) | instid1(VALU_DEP_1)
	v_cmp_lt_f32_e64 s3, 0, v13
	v_cndmask_b32_e64 v7, v9, v7, s3
	s_delay_alu instid0(VALU_DEP_3) | instskip(SKIP_1) | instid1(VALU_DEP_2)
	v_cndmask_b32_e32 v5, v5, v12, vcc_lo
	v_cmp_class_f32_e64 vcc_lo, v6, 0x260
	v_cndmask_b32_e32 v5, v5, v6, vcc_lo
	s_delay_alu instid0(VALU_DEP_1) | instskip(SKIP_2) | instid1(VALU_DEP_2)
	v_cmp_nge_f32_e32 vcc_lo, 1.0, v5
	v_dual_cndmask_b32 v1, v8, v1 :: v_dual_mul_f32 v6, 0x37800000, v7
	v_cmp_class_f32_e64 vcc_lo, v4, 0x260
	v_dual_cndmask_b32 v5, v7, v6, s2 :: v_dual_add_f32 v6, 1.0, v1
	s_delay_alu instid0(VALU_DEP_1) | instskip(NEXT) | instid1(VALU_DEP_1)
	v_cndmask_b32_e32 v4, v5, v4, vcc_lo
	v_cmp_nge_f32_e32 vcc_lo, 1.0, v4
	s_delay_alu instid0(VALU_DEP_3)
	v_cndmask_b32_e32 v1, v6, v1, vcc_lo
	s_cbranch_scc1 .LBB27_438
; %bb.439:
	s_movk_i32 s2, 0x1001
	s_movk_i32 s7, 0x2710
	v_mad_u32 v2, v2, s2, 0x7ee55e16
	s_brev_b32 s4, 12
	s_delay_alu instid0(VALU_DEP_1) | instskip(NEXT) | instid1(VALU_DEP_1)
	v_lshrrev_b32_e32 v3, 19, v2
	v_xor3_b32 v2, v2, v3, 0xc761c23c
	s_delay_alu instid0(VALU_DEP_1) | instskip(NEXT) | instid1(VALU_DEP_1)
	v_lshl_add_u32 v2, v2, 5, v2
	v_add_nc_u32_e32 v3, 0xe9f8cc1d, v2
	v_lshl_add_u32 v2, v2, 9, 0xaccf6200
	s_delay_alu instid0(VALU_DEP_1) | instskip(NEXT) | instid1(VALU_DEP_1)
	v_xor_b32_e32 v2, v3, v2
	v_lshlrev_b32_e32 v3, 3, v2
	s_delay_alu instid0(VALU_DEP_1) | instskip(NEXT) | instid1(VALU_DEP_1)
	v_add3_u32 v2, v2, v3, 0xfd7046c5
	v_lshrrev_b32_e32 v3, 16, v2
	s_delay_alu instid0(VALU_DEP_1) | instskip(NEXT) | instid1(VALU_DEP_1)
	v_xor3_b32 v2, v2, v3, 0xb55a4f09
	v_mul_hi_u32 v3, v2, 3
	s_delay_alu instid0(VALU_DEP_1) | instskip(NEXT) | instid1(VALU_DEP_1)
	v_sub_nc_u32_e32 v4, v2, v3
	v_lshrrev_b32_e32 v4, 1, v4
	s_delay_alu instid0(VALU_DEP_1) | instskip(NEXT) | instid1(VALU_DEP_1)
	v_add_nc_u32_e32 v3, v4, v3
	v_lshrrev_b32_e32 v3, 30, v3
	s_delay_alu instid0(VALU_DEP_1) | instskip(NEXT) | instid1(VALU_DEP_1)
	v_mul_lo_u32 v3, 0x7fffffff, v3
	v_sub_nc_u32_e32 v2, v2, v3
	s_delay_alu instid0(VALU_DEP_1)
	v_max_u32_e32 v3, 1, v2
	v_mov_b32_e32 v2, 0
.LBB27_440:                             ; =>This Inner Loop Header: Depth=1
	s_delay_alu instid0(VALU_DEP_2) | instskip(SKIP_1) | instid1(SALU_CYCLE_1)
	v_mul_hi_u32 v4, 0xbc8f1391, v3
	s_add_co_i32 s7, s7, -2
	s_cmp_lg_u32 s7, 0
	s_delay_alu instid0(VALU_DEP_1) | instskip(NEXT) | instid1(VALU_DEP_1)
	v_lshrrev_b32_e32 v4, 15, v4
	v_mul_u32_u24_e32 v5, 0xadc8, v4
	s_delay_alu instid0(VALU_DEP_1) | instskip(SKIP_1) | instid1(VALU_DEP_2)
	v_sub_nc_u32_e32 v3, v3, v5
	v_mul_u32_u24_e32 v4, 0xd47, v4
	v_mul_lo_u32 v3, 0xbc8f, v3
	s_delay_alu instid0(VALU_DEP_2) | instskip(SKIP_1) | instid1(VALU_DEP_3)
	v_xor_b32_e32 v5, 0x7fffffff, v4
	v_sub_nc_u32_e32 v6, 0, v4
	v_cmp_lt_u32_e32 vcc_lo, v3, v4
	s_delay_alu instid0(VALU_DEP_2) | instskip(NEXT) | instid1(VALU_DEP_1)
	v_cndmask_b32_e32 v4, v6, v5, vcc_lo
	v_add_nc_u32_e32 v3, v4, v3
	s_delay_alu instid0(VALU_DEP_1) | instskip(NEXT) | instid1(VALU_DEP_1)
	v_mul_hi_u32 v4, 0xbc8f1391, v3
	v_lshrrev_b32_e32 v4, 15, v4
	s_delay_alu instid0(VALU_DEP_1) | instskip(SKIP_1) | instid1(VALU_DEP_2)
	v_mul_u32_u24_e32 v5, 0xadc8, v4
	v_mul_u32_u24_e32 v4, 0xd47, v4
	v_sub_nc_u32_e32 v5, v3, v5
	s_delay_alu instid0(VALU_DEP_2) | instskip(SKIP_1) | instid1(VALU_DEP_3)
	v_xor_b32_e32 v6, 0x7fffffff, v4
	v_add_nc_u32_e32 v3, -1, v3
	v_mul_lo_u32 v5, 0xbc8f, v5
	v_sub_nc_u32_e32 v7, 0, v4
	s_delay_alu instid0(VALU_DEP_2) | instskip(NEXT) | instid1(VALU_DEP_2)
	v_cmp_lt_u32_e32 vcc_lo, v5, v4
	v_cndmask_b32_e32 v4, v7, v6, vcc_lo
	s_delay_alu instid0(VALU_DEP_1) | instskip(NEXT) | instid1(VALU_DEP_1)
	v_add_nc_u32_e32 v5, v4, v5
	v_mul_hi_u32 v4, 0xbc8f1391, v5
	s_delay_alu instid0(VALU_DEP_1) | instskip(NEXT) | instid1(VALU_DEP_1)
	v_lshrrev_b32_e32 v4, 15, v4
	v_mul_u32_u24_e32 v6, 0xadc8, v4
	v_mul_u32_u24_e32 v4, 0xd47, v4
	s_delay_alu instid0(VALU_DEP_2) | instskip(NEXT) | instid1(VALU_DEP_2)
	v_sub_nc_u32_e32 v6, v5, v6
	v_xor_b32_e32 v7, 0x7fffffff, v4
	s_delay_alu instid0(VALU_DEP_2) | instskip(SKIP_1) | instid1(VALU_DEP_2)
	v_mul_lo_u32 v6, 0xbc8f, v6
	v_sub_nc_u32_e32 v8, 0, v4
	v_cmp_lt_u32_e32 vcc_lo, v6, v4
	s_delay_alu instid0(VALU_DEP_2) | instskip(NEXT) | instid1(VALU_DEP_1)
	v_dual_cndmask_b32 v4, v8, v7, vcc_lo :: v_dual_add_f32 v8, 1.0, v2
	v_add_nc_u32_e32 v6, v4, v6
	s_delay_alu instid0(VALU_DEP_1) | instskip(NEXT) | instid1(VALU_DEP_1)
	v_mul_hi_u32 v4, 0xbc8f1391, v6
	v_lshrrev_b32_e32 v4, 15, v4
	s_delay_alu instid0(VALU_DEP_1) | instskip(SKIP_2) | instid1(VALU_DEP_3)
	v_mul_u32_u24_e32 v7, 0xadc8, v4
	v_mul_u32_u24_e32 v9, 0xd47, v4
	v_cvt_f32_u32_e32 v4, v3
	v_sub_nc_u32_e32 v7, v6, v7
	s_delay_alu instid0(VALU_DEP_3) | instskip(SKIP_1) | instid1(VALU_DEP_3)
	v_xor_b32_e32 v3, 0x7fffffff, v9
	v_dual_sub_nc_u32 v10, 0, v9 :: v_dual_add_nc_u32 v6, -1, v6
	v_mul_lo_u32 v7, 0xbc8f, v7
	s_delay_alu instid0(VALU_DEP_2) | instskip(NEXT) | instid1(VALU_DEP_2)
	v_cvt_f32_u32_e32 v6, v6
	v_cmp_lt_u32_e32 vcc_lo, v7, v9
	s_delay_alu instid0(VALU_DEP_4) | instskip(NEXT) | instid1(VALU_DEP_1)
	v_dual_add_nc_u32 v5, -1, v5 :: v_dual_cndmask_b32 v3, v10, v3, vcc_lo
	v_cvt_f32_u32_e32 v5, v5
	s_delay_alu instid0(VALU_DEP_2) | instskip(NEXT) | instid1(VALU_DEP_2)
	v_add_nc_u32_e32 v3, v3, v7
	v_pk_fma_f32 v[4:5], v[4:5], s[4:5], 0 op_sel_hi:[1,0,0]
	s_delay_alu instid0(VALU_DEP_1) | instskip(NEXT) | instid1(VALU_DEP_1)
	v_pk_mul_f32 v[4:5], v[4:5], v[4:5]
	v_dual_add_nc_u32 v7, -1, v3 :: v_dual_add_f32 v9, v4, v5
	s_delay_alu instid0(VALU_DEP_1) | instskip(NEXT) | instid1(VALU_DEP_2)
	v_cvt_f32_u32_e32 v7, v7
	v_cmp_gt_f32_e32 vcc_lo, 0xf800000, v9
	s_delay_alu instid0(VALU_DEP_2) | instskip(NEXT) | instid1(VALU_DEP_1)
	v_pk_fma_f32 v[4:5], v[6:7], s[4:5], 0 op_sel_hi:[1,0,0]
	v_pk_mul_f32 v[4:5], v[4:5], v[4:5]
	s_delay_alu instid0(VALU_DEP_1) | instskip(NEXT) | instid1(VALU_DEP_1)
	v_add_f32_e32 v4, v4, v5
	v_dual_mul_f32 v6, 0x4f800000, v9 :: v_dual_mul_f32 v7, 0x4f800000, v4
	s_delay_alu instid0(VALU_DEP_1) | instskip(SKIP_1) | instid1(VALU_DEP_2)
	v_cndmask_b32_e32 v6, v9, v6, vcc_lo
	v_cmp_gt_f32_e64 s2, 0xf800000, v4
	v_sqrt_f32_e32 v5, v6
	v_nop
	s_delay_alu instid0(TRANS32_DEP_1) | instskip(NEXT) | instid1(VALU_DEP_1)
	v_dual_add_nc_u32 v9, -1, v5 :: v_dual_cndmask_b32 v4, v4, v7, s2
	v_dual_add_nc_u32 v7, 1, v5 :: v_dual_fma_f32 v10, -v9, v5, v6
	s_delay_alu instid0(VALU_DEP_2) | instskip(NEXT) | instid1(VALU_DEP_1)
	v_sqrt_f32_e32 v11, v4
	v_fma_f32 v12, -v7, v5, v6
	s_delay_alu instid0(VALU_DEP_2)
	v_cmp_ge_f32_e64 s3, 0, v10
	s_delay_alu instid0(TRANS32_DEP_1) | instid1(VALU_DEP_1)
	v_dual_cndmask_b32 v5, v5, v9, s3 :: v_dual_add_nc_u32 v9, -1, v11
	s_delay_alu instid0(VALU_DEP_3) | instskip(NEXT) | instid1(VALU_DEP_1)
	v_cmp_lt_f32_e64 s3, 0, v12
	v_cndmask_b32_e64 v5, v5, v7, s3
	s_delay_alu instid0(VALU_DEP_3) | instskip(NEXT) | instid1(VALU_DEP_1)
	v_dual_add_nc_u32 v7, 1, v11 :: v_dual_fma_f32 v10, -v9, v11, v4
	v_fma_f32 v13, -v7, v11, v4
	s_delay_alu instid0(VALU_DEP_2) | instskip(NEXT) | instid1(VALU_DEP_1)
	v_cmp_ge_f32_e64 s3, 0, v10
	v_cndmask_b32_e64 v9, v11, v9, s3
	v_mul_f32_e32 v12, 0x37800000, v5
	s_delay_alu instid0(VALU_DEP_4) | instskip(NEXT) | instid1(VALU_DEP_1)
	v_cmp_lt_f32_e64 s3, 0, v13
	v_cndmask_b32_e64 v7, v9, v7, s3
	s_delay_alu instid0(VALU_DEP_3) | instskip(SKIP_1) | instid1(VALU_DEP_2)
	v_cndmask_b32_e32 v5, v5, v12, vcc_lo
	v_cmp_class_f32_e64 vcc_lo, v6, 0x260
	v_cndmask_b32_e32 v5, v5, v6, vcc_lo
	s_delay_alu instid0(VALU_DEP_1) | instskip(SKIP_3) | instid1(VALU_DEP_2)
	v_cmp_nge_f32_e32 vcc_lo, 1.0, v5
	v_cndmask_b32_e32 v2, v8, v2, vcc_lo
	v_mul_f32_e32 v6, 0x37800000, v7
	v_cmp_class_f32_e64 vcc_lo, v4, 0x260
	v_cndmask_b32_e64 v5, v7, v6, s2
	s_delay_alu instid0(VALU_DEP_1) | instskip(NEXT) | instid1(VALU_DEP_1)
	v_dual_add_f32 v6, 1.0, v2 :: v_dual_cndmask_b32 v4, v5, v4, vcc_lo
	v_cmp_nge_f32_e32 vcc_lo, 1.0, v4
	s_delay_alu instid0(VALU_DEP_2)
	v_cndmask_b32_e32 v2, v6, v2, vcc_lo
	s_cbranch_scc1 .LBB27_440
; %bb.441:
	s_delay_alu instid0(VALU_DEP_1) | instskip(NEXT) | instid1(VALU_DEP_1)
	v_dual_mul_f32 v1, 4.0, v1 :: v_dual_mul_f32 v2, 4.0, v2
	v_div_scale_f32 v3, null, 0x461c4000, 0x461c4000, v1
	s_delay_alu instid0(VALU_DEP_2) | instskip(SKIP_1) | instid1(VALU_DEP_3)
	v_div_scale_f32 v4, null, 0x461c4000, 0x461c4000, v2
	v_div_scale_f32 v9, vcc_lo, v1, 0x461c4000, v1
	v_rcp_f32_e32 v5, v3
	s_delay_alu instid0(VALU_DEP_2) | instskip(NEXT) | instid1(TRANS32_DEP_2)
	v_rcp_f32_e32 v6, v4
	v_fma_f32 v7, -v3, v5, 1.0
	s_delay_alu instid0(TRANS32_DEP_1) | instskip(NEXT) | instid1(VALU_DEP_1)
	v_fma_f32 v8, -v4, v6, 1.0
	v_dual_fmac_f32 v5, v7, v5 :: v_dual_fmac_f32 v6, v8, v6
	v_div_scale_f32 v7, s2, v2, 0x461c4000, v2
	s_delay_alu instid0(VALU_DEP_1) | instskip(NEXT) | instid1(VALU_DEP_1)
	v_dual_mul_f32 v8, v9, v5 :: v_dual_mul_f32 v10, v7, v6
	v_dual_fma_f32 v11, -v3, v8, v9 :: v_dual_fma_f32 v12, -v4, v10, v7
	s_delay_alu instid0(VALU_DEP_1) | instskip(NEXT) | instid1(VALU_DEP_1)
	v_dual_fmac_f32 v8, v11, v5 :: v_dual_fmac_f32 v10, v12, v6
	v_dual_fma_f32 v3, -v3, v8, v9 :: v_dual_fma_f32 v4, -v4, v10, v7
	s_delay_alu instid0(VALU_DEP_1) | instskip(SKIP_2) | instid1(VALU_DEP_2)
	v_div_fmas_f32 v3, v3, v5, v8
	s_mov_b32 vcc_lo, s2
	s_mov_b32 s2, exec_lo
	v_div_fmas_f32 v4, v4, v6, v10
	s_delay_alu instid0(VALU_DEP_2) | instskip(NEXT) | instid1(VALU_DEP_2)
	v_div_fixup_f32 v1, v3, 0x461c4000, v1
	v_div_fixup_f32 v2, v4, 0x461c4000, v2
	s_delay_alu instid0(VALU_DEP_1) | instskip(NEXT) | instid1(VALU_DEP_1)
	v_add_f32_e32 v1, v1, v2
	v_mov_b32_dpp v2, v1 quad_perm:[1,0,3,2] row_mask:0xf bank_mask:0xf
	s_delay_alu instid0(VALU_DEP_1) | instskip(NEXT) | instid1(VALU_DEP_1)
	v_add_f32_e32 v1, v1, v2
	v_mov_b32_dpp v2, v1 quad_perm:[2,3,0,1] row_mask:0xf bank_mask:0xf
	s_delay_alu instid0(VALU_DEP_1) | instskip(NEXT) | instid1(VALU_DEP_1)
	v_add_f32_e32 v1, v1, v2
	v_mov_b32_dpp v2, v1 row_ror:4 row_mask:0xf bank_mask:0xf
	s_delay_alu instid0(VALU_DEP_1) | instskip(NEXT) | instid1(VALU_DEP_1)
	v_add_f32_e32 v1, v1, v2
	v_mov_b32_dpp v2, v1 row_ror:8 row_mask:0xf bank_mask:0xf
	s_delay_alu instid0(VALU_DEP_1)
	v_add_f32_e32 v1, v1, v2
	ds_swizzle_b32 v2, v1 offset:swizzle(BROADCAST,32,15)
	s_wait_dscnt 0x0
	v_dual_add_f32 v1, v1, v2 :: v_dual_mov_b32 v2, 0
	ds_bpermute_b32 v1, v2, v1 offset:124
	v_mbcnt_lo_u32_b32 v2, -1, 0
	s_delay_alu instid0(VALU_DEP_1)
	v_cmpx_eq_u32_e32 0, v2
	s_cbranch_execz .LBB27_443
; %bb.442:
	v_lshrrev_b32_e32 v3, 3, v0
	s_delay_alu instid0(VALU_DEP_1)
	v_and_b32_e32 v3, 28, v3
	s_wait_dscnt 0x0
	ds_store_b32 v3, v1 offset:64
.LBB27_443:
	s_or_b32 exec_lo, exec_lo, s2
	s_delay_alu instid0(SALU_CYCLE_1)
	s_mov_b32 s2, exec_lo
	s_wait_dscnt 0x0
	s_barrier_signal -1
	s_barrier_wait -1
	v_cmpx_gt_u32_e32 32, v0
	s_cbranch_execz .LBB27_445
; %bb.444:
	v_and_b32_e32 v1, 7, v2
	s_delay_alu instid0(VALU_DEP_1) | instskip(SKIP_1) | instid1(VALU_DEP_1)
	v_cmp_ne_u32_e32 vcc_lo, 7, v1
	v_add_co_ci_u32_e64 v4, null, 0, v2, vcc_lo
	v_lshlrev_b32_e32 v4, 2, v4
	v_cmp_gt_u32_e32 vcc_lo, 6, v1
	v_lshlrev_b32_e32 v3, 2, v1
	v_cndmask_b32_e64 v1, 0, 2, vcc_lo
	s_delay_alu instid0(VALU_DEP_1)
	v_add_lshl_u32 v1, v1, v2, 2
	v_lshlrev_b32_e32 v2, 2, v2
	ds_load_b32 v3, v3 offset:64
	v_or_b32_e32 v2, 16, v2
	s_wait_dscnt 0x0
	ds_bpermute_b32 v4, v4, v3
	s_wait_dscnt 0x0
	v_add_f32_e32 v3, v3, v4
	ds_bpermute_b32 v1, v1, v3
	s_wait_dscnt 0x0
	v_add_f32_e32 v1, v3, v1
	ds_bpermute_b32 v2, v2, v1
	s_wait_dscnt 0x0
	v_add_f32_e32 v1, v1, v2
.LBB27_445:
	s_or_b32 exec_lo, exec_lo, s2
	s_mov_b32 s2, 0
	s_branch .LBB27_448
.LBB27_446:
                                        ; implicit-def: $vgpr1
                                        ; implicit-def: $sgpr40_sgpr41
	s_branch .LBB27_474
.LBB27_447:
	s_mov_b32 s2, -1
                                        ; implicit-def: $vgpr1
.LBB27_448:
	s_delay_alu instid0(SALU_CYCLE_1)
	s_and_b32 vcc_lo, exec_lo, s2
	s_cbranch_vccz .LBB27_462
; %bb.449:
	v_mov_b64_e32 v[2:3], 0
	s_sub_co_i32 s7, s36, s6
	s_mov_b32 s6, exec_lo
	v_cmpx_gt_u32_e64 s7, v0
	s_cbranch_execz .LBB27_453
; %bb.450:
	v_add_nc_u32_e32 v1, s5, v0
	s_movk_i32 s8, 0x2710
	s_brev_b32 s4, 12
	s_delay_alu instid0(VALU_DEP_1) | instskip(NEXT) | instid1(VALU_DEP_1)
	v_lshlrev_b32_e32 v2, 12, v1
	v_add3_u32 v1, v1, v2, 0x7ed55d16
	s_delay_alu instid0(VALU_DEP_1) | instskip(NEXT) | instid1(VALU_DEP_1)
	v_lshrrev_b32_e32 v2, 19, v1
	v_xor3_b32 v1, v1, v2, 0xc761c23c
	s_delay_alu instid0(VALU_DEP_1) | instskip(NEXT) | instid1(VALU_DEP_1)
	v_lshl_add_u32 v1, v1, 5, v1
	v_add_nc_u32_e32 v2, 0xe9f8cc1d, v1
	v_lshl_add_u32 v1, v1, 9, 0xaccf6200
	s_delay_alu instid0(VALU_DEP_1) | instskip(NEXT) | instid1(VALU_DEP_1)
	v_xor_b32_e32 v1, v2, v1
	v_lshlrev_b32_e32 v2, 3, v1
	s_delay_alu instid0(VALU_DEP_1) | instskip(NEXT) | instid1(VALU_DEP_1)
	v_add3_u32 v1, v1, v2, 0xfd7046c5
	v_lshrrev_b32_e32 v2, 16, v1
	s_delay_alu instid0(VALU_DEP_1) | instskip(NEXT) | instid1(VALU_DEP_1)
	v_xor3_b32 v1, v1, v2, 0xb55a4f09
	v_mul_hi_u32 v2, v1, 3
	s_delay_alu instid0(VALU_DEP_1) | instskip(NEXT) | instid1(VALU_DEP_1)
	v_sub_nc_u32_e32 v3, v1, v2
	v_lshrrev_b32_e32 v3, 1, v3
	s_delay_alu instid0(VALU_DEP_1) | instskip(NEXT) | instid1(VALU_DEP_1)
	v_add_nc_u32_e32 v2, v3, v2
	v_lshrrev_b32_e32 v2, 30, v2
	s_delay_alu instid0(VALU_DEP_1) | instskip(NEXT) | instid1(VALU_DEP_1)
	v_mul_lo_u32 v2, 0x7fffffff, v2
	v_sub_nc_u32_e32 v1, v1, v2
	s_delay_alu instid0(VALU_DEP_1)
	v_max_u32_e32 v2, 1, v1
	v_mov_b32_e32 v1, 0
.LBB27_451:                             ; =>This Inner Loop Header: Depth=1
	s_delay_alu instid0(VALU_DEP_2) | instskip(SKIP_1) | instid1(VALU_DEP_2)
	v_mul_hi_u32 v3, 0xbc8f1391, v2
	s_add_co_i32 s8, s8, -2
	v_add_f32_e32 v8, 1.0, v1
	s_cmp_lg_u32 s8, 0
	s_delay_alu instid0(VALU_DEP_2) | instskip(NEXT) | instid1(VALU_DEP_1)
	v_lshrrev_b32_e32 v3, 15, v3
	v_mul_u32_u24_e32 v4, 0xadc8, v3
	s_delay_alu instid0(VALU_DEP_1) | instskip(SKIP_1) | instid1(VALU_DEP_2)
	v_sub_nc_u32_e32 v2, v2, v4
	v_mul_u32_u24_e32 v3, 0xd47, v3
	v_mul_lo_u32 v2, 0xbc8f, v2
	s_delay_alu instid0(VALU_DEP_2) | instskip(SKIP_1) | instid1(VALU_DEP_3)
	v_xor_b32_e32 v4, 0x7fffffff, v3
	v_sub_nc_u32_e32 v5, 0, v3
	v_cmp_lt_u32_e32 vcc_lo, v2, v3
	s_delay_alu instid0(VALU_DEP_2) | instskip(NEXT) | instid1(VALU_DEP_1)
	v_cndmask_b32_e32 v3, v5, v4, vcc_lo
	v_add_nc_u32_e32 v2, v3, v2
	s_delay_alu instid0(VALU_DEP_1) | instskip(NEXT) | instid1(VALU_DEP_1)
	v_mul_hi_u32 v3, 0xbc8f1391, v2
	v_lshrrev_b32_e32 v3, 15, v3
	s_delay_alu instid0(VALU_DEP_1) | instskip(SKIP_1) | instid1(VALU_DEP_2)
	v_mul_u32_u24_e32 v4, 0xadc8, v3
	v_mul_u32_u24_e32 v3, 0xd47, v3
	v_sub_nc_u32_e32 v4, v2, v4
	s_delay_alu instid0(VALU_DEP_2) | instskip(SKIP_1) | instid1(VALU_DEP_3)
	v_xor_b32_e32 v5, 0x7fffffff, v3
	v_add_nc_u32_e32 v2, -1, v2
	v_mul_lo_u32 v4, 0xbc8f, v4
	v_sub_nc_u32_e32 v6, 0, v3
	s_delay_alu instid0(VALU_DEP_2) | instskip(NEXT) | instid1(VALU_DEP_2)
	v_cmp_lt_u32_e32 vcc_lo, v4, v3
	v_cndmask_b32_e32 v3, v6, v5, vcc_lo
	s_delay_alu instid0(VALU_DEP_1) | instskip(NEXT) | instid1(VALU_DEP_1)
	v_add_nc_u32_e32 v3, v3, v4
	v_mul_hi_u32 v4, 0xbc8f1391, v3
	s_delay_alu instid0(VALU_DEP_1) | instskip(NEXT) | instid1(VALU_DEP_1)
	v_lshrrev_b32_e32 v4, 15, v4
	v_mul_u32_u24_e32 v5, 0xadc8, v4
	v_mul_u32_u24_e32 v4, 0xd47, v4
	s_delay_alu instid0(VALU_DEP_2) | instskip(NEXT) | instid1(VALU_DEP_2)
	v_sub_nc_u32_e32 v5, v3, v5
	v_xor_b32_e32 v6, 0x7fffffff, v4
	v_dual_sub_nc_u32 v7, 0, v4 :: v_dual_add_nc_u32 v3, -1, v3
	s_delay_alu instid0(VALU_DEP_3) | instskip(NEXT) | instid1(VALU_DEP_1)
	v_mul_lo_u32 v5, 0xbc8f, v5
	v_cmp_lt_u32_e32 vcc_lo, v5, v4
	s_delay_alu instid0(VALU_DEP_3) | instskip(NEXT) | instid1(VALU_DEP_1)
	v_cndmask_b32_e32 v4, v7, v6, vcc_lo
	v_add_nc_u32_e32 v6, v4, v5
	s_delay_alu instid0(VALU_DEP_1) | instskip(NEXT) | instid1(VALU_DEP_1)
	v_mul_hi_u32 v4, 0xbc8f1391, v6
	v_lshrrev_b32_e32 v4, 15, v4
	s_delay_alu instid0(VALU_DEP_1) | instskip(NEXT) | instid1(VALU_DEP_1)
	v_mul_u32_u24_e32 v5, 0xadc8, v4
	v_sub_nc_u32_e32 v5, v6, v5
	s_delay_alu instid0(VALU_DEP_1) | instskip(SKIP_2) | instid1(VALU_DEP_2)
	v_mul_lo_u32 v7, 0xbc8f, v5
	v_mul_u32_u24_e32 v5, 0xd47, v4
	v_cvt_f32_u32_e32 v4, v2
	v_xor_b32_e32 v2, 0x7fffffff, v5
	v_sub_nc_u32_e32 v9, 0, v5
	v_cmp_lt_u32_e32 vcc_lo, v7, v5
	v_cvt_f32_u32_e32 v5, v3
	v_add_nc_u32_e32 v3, -1, v6
	s_delay_alu instid0(VALU_DEP_2) | instskip(NEXT) | instid1(VALU_DEP_2)
	v_pk_fma_f32 v[4:5], v[4:5], s[4:5], 0 op_sel_hi:[1,0,0]
	v_cvt_f32_u32_e32 v6, v3
	s_delay_alu instid0(VALU_DEP_2) | instskip(NEXT) | instid1(VALU_DEP_1)
	v_pk_mul_f32 v[4:5], v[4:5], v[4:5]
	v_dual_cndmask_b32 v2, v9, v2 :: v_dual_add_f32 v3, v4, v5
	s_delay_alu instid0(VALU_DEP_1) | instskip(NEXT) | instid1(VALU_DEP_2)
	v_add_nc_u32_e32 v2, v2, v7
	v_cmp_gt_f32_e32 vcc_lo, 0xf800000, v3
	s_delay_alu instid0(VALU_DEP_2) | instskip(NEXT) | instid1(VALU_DEP_1)
	v_add_nc_u32_e32 v7, -1, v2
	v_cvt_f32_u32_e32 v7, v7
	s_delay_alu instid0(VALU_DEP_1) | instskip(SKIP_1) | instid1(VALU_DEP_2)
	v_pk_fma_f32 v[4:5], v[6:7], s[4:5], 0 op_sel_hi:[1,0,0]
	v_mul_f32_e32 v6, 0x4f800000, v3
	v_pk_mul_f32 v[4:5], v[4:5], v[4:5]
	s_delay_alu instid0(VALU_DEP_1) | instskip(NEXT) | instid1(VALU_DEP_1)
	v_dual_add_f32 v4, v4, v5 :: v_dual_cndmask_b32 v3, v3, v6
	v_mul_f32_e32 v6, 0x4f800000, v4
	s_delay_alu instid0(VALU_DEP_2)
	v_sqrt_f32_e32 v5, v3
	v_cmp_gt_f32_e64 s2, 0xf800000, v4
	s_delay_alu instid0(TRANS32_DEP_1) | instid1(VALU_DEP_1)
	v_dual_cndmask_b32 v4, v4, v6, s2 :: v_dual_add_nc_u32 v7, -1, v5
	v_add_nc_u32_e32 v6, 1, v5
	s_delay_alu instid0(VALU_DEP_2) | instskip(NEXT) | instid1(VALU_DEP_2)
	v_sqrt_f32_e32 v10, v4
	v_fma_f32 v9, -v7, v5, v3
	s_delay_alu instid0(VALU_DEP_1) | instskip(NEXT) | instid1(VALU_DEP_1)
	v_cmp_ge_f32_e64 s3, 0, v9
	v_dual_fma_f32 v11, -v6, v5, v3 :: v_dual_cndmask_b32 v5, v5, v7, s3
	s_delay_alu instid0(VALU_DEP_1) | instskip(NEXT) | instid1(TRANS32_DEP_1)
	v_cmp_lt_f32_e64 s3, 0, v11
	v_add_nc_u32_e32 v7, -1, v10
	s_delay_alu instid0(VALU_DEP_2) | instskip(NEXT) | instid1(VALU_DEP_2)
	v_cndmask_b32_e64 v5, v5, v6, s3
	v_dual_add_nc_u32 v6, 1, v10 :: v_dual_fma_f32 v9, -v7, v10, v4
	s_delay_alu instid0(VALU_DEP_1) | instskip(NEXT) | instid1(VALU_DEP_2)
	v_fma_f32 v12, -v6, v10, v4
	v_cmp_ge_f32_e64 s3, 0, v9
	s_delay_alu instid0(VALU_DEP_1) | instskip(SKIP_1) | instid1(VALU_DEP_4)
	v_cndmask_b32_e64 v7, v10, v7, s3
	v_mul_f32_e32 v11, 0x37800000, v5
	v_cmp_lt_f32_e64 s3, 0, v12
	s_delay_alu instid0(VALU_DEP_1) | instskip(SKIP_1) | instid1(VALU_DEP_2)
	v_dual_cndmask_b32 v5, v5, v11, vcc_lo :: v_dual_cndmask_b32 v6, v7, v6, s3
	v_cmp_class_f32_e64 vcc_lo, v3, 0x260
	v_cndmask_b32_e32 v3, v5, v3, vcc_lo
	s_delay_alu instid0(VALU_DEP_3) | instskip(NEXT) | instid1(VALU_DEP_2)
	v_mul_f32_e32 v5, 0x37800000, v6
	v_cmp_nge_f32_e32 vcc_lo, 1.0, v3
	s_delay_alu instid0(VALU_DEP_2) | instskip(SKIP_2) | instid1(VALU_DEP_1)
	v_cndmask_b32_e64 v3, v6, v5, s2
	v_cndmask_b32_e32 v1, v8, v1, vcc_lo
	v_cmp_class_f32_e64 vcc_lo, v4, 0x260
	v_dual_add_f32 v5, 1.0, v1 :: v_dual_cndmask_b32 v3, v3, v4, vcc_lo
	s_delay_alu instid0(VALU_DEP_1) | instskip(NEXT) | instid1(VALU_DEP_2)
	v_cmp_nge_f32_e32 vcc_lo, 1.0, v3
	v_cndmask_b32_e32 v1, v5, v1, vcc_lo
	s_cbranch_scc1 .LBB27_451
; %bb.452:
	s_delay_alu instid0(VALU_DEP_1) | instskip(NEXT) | instid1(VALU_DEP_1)
	v_mul_f32_e32 v1, 4.0, v1
	v_div_scale_f32 v2, null, 0x461c4000, 0x461c4000, v1
	s_delay_alu instid0(VALU_DEP_1) | instskip(SKIP_1) | instid1(TRANS32_DEP_1)
	v_rcp_f32_e32 v3, v2
	v_nop
	v_fma_f32 v4, -v2, v3, 1.0
	s_delay_alu instid0(VALU_DEP_1) | instskip(SKIP_1) | instid1(VALU_DEP_1)
	v_fmac_f32_e32 v3, v4, v3
	v_div_scale_f32 v5, vcc_lo, v1, 0x461c4000, v1
	v_mul_f32_e32 v4, v5, v3
	s_delay_alu instid0(VALU_DEP_1) | instskip(NEXT) | instid1(VALU_DEP_1)
	v_fma_f32 v6, -v2, v4, v5
	v_fmac_f32_e32 v4, v6, v3
	s_delay_alu instid0(VALU_DEP_1) | instskip(NEXT) | instid1(VALU_DEP_1)
	v_fma_f32 v2, -v2, v4, v5
	v_div_fmas_f32 v2, v2, v3, v4
	v_mov_b32_e32 v3, 0
	s_delay_alu instid0(VALU_DEP_2)
	v_div_fixup_f32 v2, v2, 0x461c4000, v1
.LBB27_453:
	s_or_b32 exec_lo, exec_lo, s6
	v_or_b32_e32 v1, 0x100, v0
	s_delay_alu instid0(VALU_DEP_1)
	v_cmp_gt_u32_e64 s2, s7, v1
	s_and_saveexec_b32 s8, s2
	s_cbranch_execz .LBB27_457
; %bb.454:
	v_add_nc_u32_e32 v1, s5, v1
	s_movk_i32 s5, 0x2710
	s_brev_b32 s6, 12
	s_delay_alu instid0(VALU_DEP_1) | instskip(NEXT) | instid1(VALU_DEP_1)
	v_lshlrev_b32_e32 v3, 12, v1
	v_add3_u32 v1, v1, v3, 0x7ed55d16
	s_delay_alu instid0(VALU_DEP_1) | instskip(NEXT) | instid1(VALU_DEP_1)
	v_lshrrev_b32_e32 v3, 19, v1
	v_xor3_b32 v1, v1, v3, 0xc761c23c
	s_delay_alu instid0(VALU_DEP_1) | instskip(NEXT) | instid1(VALU_DEP_1)
	v_lshl_add_u32 v1, v1, 5, v1
	v_add_nc_u32_e32 v3, 0xe9f8cc1d, v1
	v_lshl_add_u32 v1, v1, 9, 0xaccf6200
	s_delay_alu instid0(VALU_DEP_1) | instskip(NEXT) | instid1(VALU_DEP_1)
	v_xor_b32_e32 v1, v3, v1
	v_lshlrev_b32_e32 v3, 3, v1
	s_delay_alu instid0(VALU_DEP_1) | instskip(NEXT) | instid1(VALU_DEP_1)
	v_add3_u32 v1, v1, v3, 0xfd7046c5
	v_lshrrev_b32_e32 v3, 16, v1
	s_delay_alu instid0(VALU_DEP_1) | instskip(NEXT) | instid1(VALU_DEP_1)
	v_xor3_b32 v1, v1, v3, 0xb55a4f09
	v_mul_hi_u32 v3, v1, 3
	s_delay_alu instid0(VALU_DEP_1) | instskip(NEXT) | instid1(VALU_DEP_1)
	v_sub_nc_u32_e32 v4, v1, v3
	v_lshrrev_b32_e32 v4, 1, v4
	s_delay_alu instid0(VALU_DEP_1) | instskip(NEXT) | instid1(VALU_DEP_1)
	v_add_nc_u32_e32 v3, v4, v3
	v_lshrrev_b32_e32 v3, 30, v3
	s_delay_alu instid0(VALU_DEP_1) | instskip(NEXT) | instid1(VALU_DEP_1)
	v_mul_lo_u32 v3, 0x7fffffff, v3
	v_sub_nc_u32_e32 v1, v1, v3
	s_delay_alu instid0(VALU_DEP_1)
	v_max_u32_e32 v3, 1, v1
	v_mov_b32_e32 v1, 0
.LBB27_455:                             ; =>This Inner Loop Header: Depth=1
	s_delay_alu instid0(VALU_DEP_2) | instskip(SKIP_1) | instid1(SALU_CYCLE_1)
	v_mul_hi_u32 v4, 0xbc8f1391, v3
	s_add_co_i32 s5, s5, -2
	s_cmp_lg_u32 s5, 0
	s_delay_alu instid0(VALU_DEP_1) | instskip(NEXT) | instid1(VALU_DEP_1)
	v_lshrrev_b32_e32 v4, 15, v4
	v_mul_u32_u24_e32 v5, 0xadc8, v4
	s_delay_alu instid0(VALU_DEP_1) | instskip(SKIP_1) | instid1(VALU_DEP_2)
	v_sub_nc_u32_e32 v3, v3, v5
	v_mul_u32_u24_e32 v4, 0xd47, v4
	v_mul_lo_u32 v3, 0xbc8f, v3
	s_delay_alu instid0(VALU_DEP_2) | instskip(SKIP_1) | instid1(VALU_DEP_3)
	v_xor_b32_e32 v5, 0x7fffffff, v4
	v_sub_nc_u32_e32 v6, 0, v4
	v_cmp_lt_u32_e32 vcc_lo, v3, v4
	s_delay_alu instid0(VALU_DEP_2) | instskip(NEXT) | instid1(VALU_DEP_1)
	v_cndmask_b32_e32 v4, v6, v5, vcc_lo
	v_add_nc_u32_e32 v3, v4, v3
	s_delay_alu instid0(VALU_DEP_1) | instskip(NEXT) | instid1(VALU_DEP_1)
	v_mul_hi_u32 v4, 0xbc8f1391, v3
	v_lshrrev_b32_e32 v4, 15, v4
	s_delay_alu instid0(VALU_DEP_1) | instskip(SKIP_1) | instid1(VALU_DEP_2)
	v_mul_u32_u24_e32 v5, 0xadc8, v4
	v_mul_u32_u24_e32 v4, 0xd47, v4
	v_sub_nc_u32_e32 v5, v3, v5
	s_delay_alu instid0(VALU_DEP_2) | instskip(SKIP_1) | instid1(VALU_DEP_3)
	v_xor_b32_e32 v6, 0x7fffffff, v4
	v_add_nc_u32_e32 v3, -1, v3
	v_mul_lo_u32 v5, 0xbc8f, v5
	v_sub_nc_u32_e32 v7, 0, v4
	s_delay_alu instid0(VALU_DEP_2) | instskip(NEXT) | instid1(VALU_DEP_2)
	v_cmp_lt_u32_e32 vcc_lo, v5, v4
	v_cndmask_b32_e32 v4, v7, v6, vcc_lo
	s_delay_alu instid0(VALU_DEP_1) | instskip(NEXT) | instid1(VALU_DEP_1)
	v_add_nc_u32_e32 v5, v4, v5
	v_mul_hi_u32 v4, 0xbc8f1391, v5
	s_delay_alu instid0(VALU_DEP_1) | instskip(NEXT) | instid1(VALU_DEP_1)
	v_lshrrev_b32_e32 v4, 15, v4
	v_mul_u32_u24_e32 v6, 0xadc8, v4
	v_mul_u32_u24_e32 v4, 0xd47, v4
	s_delay_alu instid0(VALU_DEP_2) | instskip(NEXT) | instid1(VALU_DEP_2)
	v_sub_nc_u32_e32 v6, v5, v6
	v_xor_b32_e32 v7, 0x7fffffff, v4
	s_delay_alu instid0(VALU_DEP_2) | instskip(SKIP_1) | instid1(VALU_DEP_2)
	v_mul_lo_u32 v6, 0xbc8f, v6
	v_sub_nc_u32_e32 v8, 0, v4
	v_cmp_lt_u32_e32 vcc_lo, v6, v4
	s_delay_alu instid0(VALU_DEP_2) | instskip(NEXT) | instid1(VALU_DEP_1)
	v_dual_cndmask_b32 v4, v8, v7, vcc_lo :: v_dual_add_f32 v8, 1.0, v1
	v_add_nc_u32_e32 v6, v4, v6
	s_delay_alu instid0(VALU_DEP_1) | instskip(NEXT) | instid1(VALU_DEP_1)
	v_mul_hi_u32 v4, 0xbc8f1391, v6
	v_lshrrev_b32_e32 v4, 15, v4
	s_delay_alu instid0(VALU_DEP_1) | instskip(SKIP_2) | instid1(VALU_DEP_3)
	v_mul_u32_u24_e32 v7, 0xadc8, v4
	v_mul_u32_u24_e32 v9, 0xd47, v4
	v_cvt_f32_u32_e32 v4, v3
	v_sub_nc_u32_e32 v7, v6, v7
	s_delay_alu instid0(VALU_DEP_3) | instskip(SKIP_1) | instid1(VALU_DEP_3)
	v_xor_b32_e32 v3, 0x7fffffff, v9
	v_dual_sub_nc_u32 v10, 0, v9 :: v_dual_add_nc_u32 v6, -1, v6
	v_mul_lo_u32 v7, 0xbc8f, v7
	s_delay_alu instid0(VALU_DEP_2) | instskip(NEXT) | instid1(VALU_DEP_2)
	v_cvt_f32_u32_e32 v6, v6
	v_cmp_lt_u32_e32 vcc_lo, v7, v9
	s_delay_alu instid0(VALU_DEP_4) | instskip(NEXT) | instid1(VALU_DEP_1)
	v_dual_add_nc_u32 v5, -1, v5 :: v_dual_cndmask_b32 v3, v10, v3, vcc_lo
	v_cvt_f32_u32_e32 v5, v5
	s_delay_alu instid0(VALU_DEP_2) | instskip(NEXT) | instid1(VALU_DEP_2)
	v_add_nc_u32_e32 v3, v3, v7
	v_pk_fma_f32 v[4:5], v[4:5], s[6:7], 0 op_sel_hi:[1,0,0]
	s_delay_alu instid0(VALU_DEP_1) | instskip(NEXT) | instid1(VALU_DEP_1)
	v_pk_mul_f32 v[4:5], v[4:5], v[4:5]
	v_dual_add_nc_u32 v7, -1, v3 :: v_dual_add_f32 v9, v4, v5
	s_delay_alu instid0(VALU_DEP_1) | instskip(NEXT) | instid1(VALU_DEP_2)
	v_cvt_f32_u32_e32 v7, v7
	v_cmp_gt_f32_e32 vcc_lo, 0xf800000, v9
	s_delay_alu instid0(VALU_DEP_2) | instskip(NEXT) | instid1(VALU_DEP_1)
	v_pk_fma_f32 v[4:5], v[6:7], s[6:7], 0 op_sel_hi:[1,0,0]
	v_pk_mul_f32 v[4:5], v[4:5], v[4:5]
	s_delay_alu instid0(VALU_DEP_1) | instskip(NEXT) | instid1(VALU_DEP_1)
	v_add_f32_e32 v4, v4, v5
	v_dual_mul_f32 v6, 0x4f800000, v9 :: v_dual_mul_f32 v7, 0x4f800000, v4
	s_delay_alu instid0(VALU_DEP_1) | instskip(SKIP_1) | instid1(VALU_DEP_2)
	v_cndmask_b32_e32 v6, v9, v6, vcc_lo
	v_cmp_gt_f32_e64 s3, 0xf800000, v4
	v_sqrt_f32_e32 v5, v6
	v_nop
	s_delay_alu instid0(TRANS32_DEP_1) | instskip(NEXT) | instid1(VALU_DEP_1)
	v_dual_add_nc_u32 v9, -1, v5 :: v_dual_cndmask_b32 v4, v4, v7, s3
	v_dual_add_nc_u32 v7, 1, v5 :: v_dual_fma_f32 v10, -v9, v5, v6
	s_delay_alu instid0(VALU_DEP_2) | instskip(NEXT) | instid1(VALU_DEP_1)
	v_sqrt_f32_e32 v11, v4
	v_fma_f32 v12, -v7, v5, v6
	s_delay_alu instid0(VALU_DEP_2)
	v_cmp_ge_f32_e64 s4, 0, v10
	s_delay_alu instid0(TRANS32_DEP_1) | instid1(VALU_DEP_1)
	v_dual_cndmask_b32 v5, v5, v9, s4 :: v_dual_add_nc_u32 v9, -1, v11
	s_delay_alu instid0(VALU_DEP_3) | instskip(NEXT) | instid1(VALU_DEP_1)
	v_cmp_lt_f32_e64 s4, 0, v12
	v_cndmask_b32_e64 v5, v5, v7, s4
	s_delay_alu instid0(VALU_DEP_3) | instskip(NEXT) | instid1(VALU_DEP_1)
	v_dual_add_nc_u32 v7, 1, v11 :: v_dual_fma_f32 v10, -v9, v11, v4
	v_fma_f32 v13, -v7, v11, v4
	s_delay_alu instid0(VALU_DEP_2) | instskip(NEXT) | instid1(VALU_DEP_1)
	v_cmp_ge_f32_e64 s4, 0, v10
	v_cndmask_b32_e64 v9, v11, v9, s4
	v_mul_f32_e32 v12, 0x37800000, v5
	s_delay_alu instid0(VALU_DEP_4) | instskip(NEXT) | instid1(VALU_DEP_1)
	v_cmp_lt_f32_e64 s4, 0, v13
	v_cndmask_b32_e64 v7, v9, v7, s4
	s_delay_alu instid0(VALU_DEP_3) | instskip(SKIP_1) | instid1(VALU_DEP_2)
	v_cndmask_b32_e32 v5, v5, v12, vcc_lo
	v_cmp_class_f32_e64 vcc_lo, v6, 0x260
	v_cndmask_b32_e32 v5, v5, v6, vcc_lo
	s_delay_alu instid0(VALU_DEP_1) | instskip(SKIP_2) | instid1(VALU_DEP_2)
	v_cmp_nge_f32_e32 vcc_lo, 1.0, v5
	v_dual_cndmask_b32 v1, v8, v1 :: v_dual_mul_f32 v6, 0x37800000, v7
	v_cmp_class_f32_e64 vcc_lo, v4, 0x260
	v_dual_cndmask_b32 v5, v7, v6, s3 :: v_dual_add_f32 v6, 1.0, v1
	s_delay_alu instid0(VALU_DEP_1) | instskip(NEXT) | instid1(VALU_DEP_1)
	v_cndmask_b32_e32 v4, v5, v4, vcc_lo
	v_cmp_nge_f32_e32 vcc_lo, 1.0, v4
	s_delay_alu instid0(VALU_DEP_3)
	v_cndmask_b32_e32 v1, v6, v1, vcc_lo
	s_cbranch_scc1 .LBB27_455
; %bb.456:
	s_delay_alu instid0(VALU_DEP_1) | instskip(NEXT) | instid1(VALU_DEP_1)
	v_mul_f32_e32 v1, 4.0, v1
	v_div_scale_f32 v3, null, 0x461c4000, 0x461c4000, v1
	s_delay_alu instid0(VALU_DEP_1) | instskip(SKIP_1) | instid1(TRANS32_DEP_1)
	v_rcp_f32_e32 v4, v3
	v_nop
	v_fma_f32 v5, -v3, v4, 1.0
	s_delay_alu instid0(VALU_DEP_1) | instskip(SKIP_1) | instid1(VALU_DEP_1)
	v_fmac_f32_e32 v4, v5, v4
	v_div_scale_f32 v5, vcc_lo, v1, 0x461c4000, v1
	v_mul_f32_e32 v6, v5, v4
	s_delay_alu instid0(VALU_DEP_1) | instskip(NEXT) | instid1(VALU_DEP_1)
	v_fma_f32 v7, -v3, v6, v5
	v_fmac_f32_e32 v6, v7, v4
	s_delay_alu instid0(VALU_DEP_1) | instskip(NEXT) | instid1(VALU_DEP_1)
	v_fma_f32 v3, -v3, v6, v5
	v_div_fmas_f32 v3, v3, v4, v6
	s_delay_alu instid0(VALU_DEP_1)
	v_div_fixup_f32 v3, v3, 0x461c4000, v1
.LBB27_457:
	s_or_b32 exec_lo, exec_lo, s8
	v_mbcnt_lo_u32_b32 v4, -1, 0
	s_delay_alu instid0(VALU_DEP_2) | instskip(SKIP_1) | instid1(VALU_DEP_2)
	v_add_f32_e32 v1, v3, v2
	s_min_u32 s3, s7, 0x100
	v_cmp_ne_u32_e32 vcc_lo, 31, v4
	s_delay_alu instid0(VALU_DEP_2) | instskip(SKIP_4) | instid1(VALU_DEP_2)
	v_dual_cndmask_b32 v1, v2, v1, s2 :: v_dual_add_nc_u32 v6, 1, v4
	v_cmp_gt_u32_e64 s2, 28, v4
	v_add_nc_u32_e32 v7, 2, v4
	v_add_co_ci_u32_e64 v3, null, 0, v4, vcc_lo
	v_cmp_gt_u32_e32 vcc_lo, 30, v4
	v_lshlrev_b32_e32 v2, 2, v3
	v_and_b32_e32 v3, 0xe0, v0
	v_cndmask_b32_e64 v5, 0, 2, vcc_lo
	ds_bpermute_b32 v2, v2, v1
	v_sub_nc_u32_e64 v3, s3, v3 clamp
	v_add_lshl_u32 v5, v5, v4, 2
	s_delay_alu instid0(VALU_DEP_2) | instskip(SKIP_3) | instid1(VALU_DEP_3)
	v_cmp_lt_u32_e32 vcc_lo, v6, v3
	v_cndmask_b32_e64 v6, 0, 4, s2
	v_cmp_lt_u32_e64 s2, v7, v3
	v_add_nc_u32_e32 v7, 4, v4
	v_add_lshl_u32 v6, v6, v4, 2
	s_wait_dscnt 0x0
	v_add_f32_e32 v2, v1, v2
	s_delay_alu instid0(VALU_DEP_1) | instskip(SKIP_3) | instid1(VALU_DEP_1)
	v_cndmask_b32_e32 v2, v1, v2, vcc_lo
	ds_bpermute_b32 v5, v5, v2
	s_wait_dscnt 0x0
	v_add_f32_e32 v5, v2, v5
	v_cndmask_b32_e64 v2, v2, v5, s2
	v_cmp_gt_u32_e64 s2, 24, v4
	ds_bpermute_b32 v5, v6, v2
	v_cndmask_b32_e64 v6, 0, 8, s2
	v_cmp_lt_u32_e64 s2, v7, v3
	v_add_nc_u32_e32 v7, 8, v4
	s_delay_alu instid0(VALU_DEP_3) | instskip(SKIP_2) | instid1(VALU_DEP_1)
	v_add_lshl_u32 v6, v6, v4, 2
	s_wait_dscnt 0x0
	v_add_f32_e32 v5, v2, v5
	v_cndmask_b32_e64 v5, v2, v5, s2
	v_cmp_lt_u32_e64 s2, v7, v3
	v_dual_add_nc_u32 v7, 16, v4 :: v_dual_lshlrev_b32 v2, 2, v4
	ds_bpermute_b32 v6, v6, v5
	v_or_b32_e32 v8, 64, v2
	s_wait_dscnt 0x0
	v_add_f32_e32 v6, v5, v6
	s_delay_alu instid0(VALU_DEP_1) | instskip(SKIP_4) | instid1(VALU_DEP_1)
	v_cndmask_b32_e64 v5, v5, v6, s2
	v_cmp_lt_u32_e64 s2, v7, v3
	ds_bpermute_b32 v6, v8, v5
	s_wait_dscnt 0x0
	v_add_f32_e32 v6, v5, v6
	v_cndmask_b32_e64 v3, v5, v6, s2
	s_mov_b32 s2, exec_lo
	s_delay_alu instid0(VALU_DEP_1)
	v_cndmask_b32_e32 v1, v1, v3, vcc_lo
	v_cmpx_eq_u32_e32 0, v4
; %bb.458:
	v_lshrrev_b32_e32 v3, 3, v0
	s_delay_alu instid0(VALU_DEP_1)
	v_and_b32_e32 v3, 28, v3
	ds_store_b32 v3, v1 offset:192
; %bb.459:
	s_or_b32 exec_lo, exec_lo, s2
	s_delay_alu instid0(SALU_CYCLE_1)
	s_mov_b32 s4, exec_lo
	s_wait_dscnt 0x0
	s_barrier_signal -1
	s_barrier_wait -1
	v_cmpx_gt_u32_e32 8, v0
	s_cbranch_execz .LBB27_461
; %bb.460:
	ds_load_b32 v1, v2 offset:192
	v_and_b32_e32 v3, 7, v4
	s_add_co_i32 s3, s3, 31
	v_or_b32_e32 v2, 16, v2
	s_lshr_b32 s3, s3, 5
	s_delay_alu instid0(VALU_DEP_2) | instskip(SKIP_1) | instid1(VALU_DEP_1)
	v_cmp_ne_u32_e32 vcc_lo, 7, v3
	v_add_co_ci_u32_e64 v5, null, 0, v4, vcc_lo
	v_lshlrev_b32_e32 v5, 2, v5
	v_cmp_gt_u32_e32 vcc_lo, 6, v3
	s_wait_dscnt 0x0
	ds_bpermute_b32 v5, v5, v1
	v_add_nc_u32_e32 v7, 1, v3
	v_cndmask_b32_e64 v6, 0, 2, vcc_lo
	s_delay_alu instid0(VALU_DEP_1) | instskip(SKIP_1) | instid1(VALU_DEP_1)
	v_add_lshl_u32 v4, v6, v4, 2
	v_dual_add_nc_u32 v6, 2, v3 :: v_dual_add_nc_u32 v3, 4, v3
	v_cmp_gt_u32_e64 s2, s3, v6
	s_wait_dscnt 0x0
	v_add_f32_e32 v5, v1, v5
	v_cmp_gt_u32_e32 vcc_lo, s3, v7
	s_delay_alu instid0(VALU_DEP_2) | instskip(SKIP_3) | instid1(VALU_DEP_1)
	v_cndmask_b32_e32 v5, v1, v5, vcc_lo
	ds_bpermute_b32 v4, v4, v5
	s_wait_dscnt 0x0
	v_add_f32_e32 v4, v5, v4
	v_cndmask_b32_e64 v4, v5, v4, s2
	v_cmp_gt_u32_e64 s2, s3, v3
	ds_bpermute_b32 v2, v2, v4
	s_wait_dscnt 0x0
	v_add_f32_e32 v2, v4, v2
	s_delay_alu instid0(VALU_DEP_1) | instskip(NEXT) | instid1(VALU_DEP_1)
	v_cndmask_b32_e64 v2, v4, v2, s2
	v_cndmask_b32_e32 v1, v1, v2, vcc_lo
.LBB27_461:
	s_or_b32 exec_lo, exec_lo, s4
.LBB27_462:
	v_cmp_eq_u32_e64 s2, 0, v0
	s_branch .LBB27_474
.LBB27_463:
	s_cmp_eq_u32 s42, 1
	s_cbranch_scc0 .LBB27_473
; %bb.464:
	s_bfe_u32 s2, ttmp6, 0x4000c
	s_and_b32 s3, ttmp6, 15
	s_add_co_i32 s2, s2, 1
	s_getreg_b32 s4, hwreg(HW_REG_IB_STS2, 6, 4)
	s_mul_i32 s2, ttmp9, s2
	s_mov_b32 s41, 0
	s_add_co_i32 s3, s3, s2
	s_cmp_eq_u32 s4, 0
	s_cselect_b32 s40, ttmp9, s3
	s_lshr_b64 s[2:3], s[36:37], 8
	s_lshl_b32 s5, s40, 8
	s_cmp_lg_u64 s[2:3], s[40:41]
	s_cbranch_scc0 .LBB27_477
; %bb.465:
	v_add3_u32 v1, s43, s5, v0
	s_movk_i32 s6, 0x2710
	s_brev_b32 s4, 12
	s_delay_alu instid0(VALU_DEP_1) | instskip(NEXT) | instid1(VALU_DEP_1)
	v_lshlrev_b32_e32 v2, 12, v1
	v_add3_u32 v1, v1, v2, 0x7ed55d16
	s_delay_alu instid0(VALU_DEP_1) | instskip(NEXT) | instid1(VALU_DEP_1)
	v_lshrrev_b32_e32 v2, 19, v1
	v_xor3_b32 v1, v1, v2, 0xc761c23c
	s_delay_alu instid0(VALU_DEP_1) | instskip(NEXT) | instid1(VALU_DEP_1)
	v_lshl_add_u32 v1, v1, 5, v1
	v_add_nc_u32_e32 v2, 0xe9f8cc1d, v1
	v_lshl_add_u32 v1, v1, 9, 0xaccf6200
	s_delay_alu instid0(VALU_DEP_1) | instskip(NEXT) | instid1(VALU_DEP_1)
	v_xor_b32_e32 v1, v2, v1
	v_lshlrev_b32_e32 v2, 3, v1
	s_delay_alu instid0(VALU_DEP_1) | instskip(NEXT) | instid1(VALU_DEP_1)
	v_add3_u32 v1, v1, v2, 0xfd7046c5
	v_lshrrev_b32_e32 v2, 16, v1
	s_delay_alu instid0(VALU_DEP_1) | instskip(NEXT) | instid1(VALU_DEP_1)
	v_xor3_b32 v1, v1, v2, 0xb55a4f09
	v_mul_hi_u32 v2, v1, 3
	s_delay_alu instid0(VALU_DEP_1) | instskip(NEXT) | instid1(VALU_DEP_1)
	v_sub_nc_u32_e32 v3, v1, v2
	v_lshrrev_b32_e32 v3, 1, v3
	s_delay_alu instid0(VALU_DEP_1) | instskip(NEXT) | instid1(VALU_DEP_1)
	v_add_nc_u32_e32 v2, v3, v2
	v_lshrrev_b32_e32 v2, 30, v2
	s_delay_alu instid0(VALU_DEP_1) | instskip(NEXT) | instid1(VALU_DEP_1)
	v_mul_lo_u32 v2, 0x7fffffff, v2
	v_sub_nc_u32_e32 v1, v1, v2
	s_delay_alu instid0(VALU_DEP_1)
	v_max_u32_e32 v2, 1, v1
	v_mov_b32_e32 v1, 0
.LBB27_466:                             ; =>This Inner Loop Header: Depth=1
	s_delay_alu instid0(VALU_DEP_2) | instskip(SKIP_1) | instid1(VALU_DEP_2)
	v_mul_hi_u32 v3, 0xbc8f1391, v2
	s_add_co_i32 s6, s6, -2
	v_add_f32_e32 v8, 1.0, v1
	s_cmp_lg_u32 s6, 0
	s_delay_alu instid0(VALU_DEP_2) | instskip(NEXT) | instid1(VALU_DEP_1)
	v_lshrrev_b32_e32 v3, 15, v3
	v_mul_u32_u24_e32 v4, 0xadc8, v3
	s_delay_alu instid0(VALU_DEP_1) | instskip(SKIP_1) | instid1(VALU_DEP_2)
	v_sub_nc_u32_e32 v2, v2, v4
	v_mul_u32_u24_e32 v3, 0xd47, v3
	v_mul_lo_u32 v2, 0xbc8f, v2
	s_delay_alu instid0(VALU_DEP_2) | instskip(SKIP_1) | instid1(VALU_DEP_3)
	v_xor_b32_e32 v4, 0x7fffffff, v3
	v_sub_nc_u32_e32 v5, 0, v3
	v_cmp_lt_u32_e32 vcc_lo, v2, v3
	s_delay_alu instid0(VALU_DEP_2) | instskip(NEXT) | instid1(VALU_DEP_1)
	v_cndmask_b32_e32 v3, v5, v4, vcc_lo
	v_add_nc_u32_e32 v2, v3, v2
	s_delay_alu instid0(VALU_DEP_1) | instskip(NEXT) | instid1(VALU_DEP_1)
	v_mul_hi_u32 v3, 0xbc8f1391, v2
	v_lshrrev_b32_e32 v3, 15, v3
	s_delay_alu instid0(VALU_DEP_1) | instskip(SKIP_1) | instid1(VALU_DEP_2)
	v_mul_u32_u24_e32 v4, 0xadc8, v3
	v_mul_u32_u24_e32 v3, 0xd47, v3
	v_sub_nc_u32_e32 v4, v2, v4
	s_delay_alu instid0(VALU_DEP_2) | instskip(SKIP_1) | instid1(VALU_DEP_3)
	v_xor_b32_e32 v5, 0x7fffffff, v3
	v_add_nc_u32_e32 v2, -1, v2
	v_mul_lo_u32 v4, 0xbc8f, v4
	v_sub_nc_u32_e32 v6, 0, v3
	s_delay_alu instid0(VALU_DEP_2) | instskip(NEXT) | instid1(VALU_DEP_2)
	v_cmp_lt_u32_e32 vcc_lo, v4, v3
	v_cndmask_b32_e32 v3, v6, v5, vcc_lo
	s_delay_alu instid0(VALU_DEP_1) | instskip(NEXT) | instid1(VALU_DEP_1)
	v_add_nc_u32_e32 v3, v3, v4
	v_mul_hi_u32 v4, 0xbc8f1391, v3
	s_delay_alu instid0(VALU_DEP_1) | instskip(NEXT) | instid1(VALU_DEP_1)
	v_lshrrev_b32_e32 v4, 15, v4
	v_mul_u32_u24_e32 v5, 0xadc8, v4
	v_mul_u32_u24_e32 v4, 0xd47, v4
	s_delay_alu instid0(VALU_DEP_2) | instskip(NEXT) | instid1(VALU_DEP_2)
	v_sub_nc_u32_e32 v5, v3, v5
	v_xor_b32_e32 v6, 0x7fffffff, v4
	v_dual_sub_nc_u32 v7, 0, v4 :: v_dual_add_nc_u32 v3, -1, v3
	s_delay_alu instid0(VALU_DEP_3) | instskip(NEXT) | instid1(VALU_DEP_1)
	v_mul_lo_u32 v5, 0xbc8f, v5
	v_cmp_lt_u32_e32 vcc_lo, v5, v4
	s_delay_alu instid0(VALU_DEP_3) | instskip(NEXT) | instid1(VALU_DEP_1)
	v_cndmask_b32_e32 v4, v7, v6, vcc_lo
	v_add_nc_u32_e32 v6, v4, v5
	s_delay_alu instid0(VALU_DEP_1) | instskip(NEXT) | instid1(VALU_DEP_1)
	v_mul_hi_u32 v4, 0xbc8f1391, v6
	v_lshrrev_b32_e32 v4, 15, v4
	s_delay_alu instid0(VALU_DEP_1) | instskip(NEXT) | instid1(VALU_DEP_1)
	v_mul_u32_u24_e32 v5, 0xadc8, v4
	v_sub_nc_u32_e32 v5, v6, v5
	s_delay_alu instid0(VALU_DEP_1) | instskip(SKIP_2) | instid1(VALU_DEP_2)
	v_mul_lo_u32 v7, 0xbc8f, v5
	v_mul_u32_u24_e32 v5, 0xd47, v4
	v_cvt_f32_u32_e32 v4, v2
	v_xor_b32_e32 v2, 0x7fffffff, v5
	v_sub_nc_u32_e32 v9, 0, v5
	v_cmp_lt_u32_e32 vcc_lo, v7, v5
	v_cvt_f32_u32_e32 v5, v3
	v_add_nc_u32_e32 v3, -1, v6
	s_delay_alu instid0(VALU_DEP_2) | instskip(NEXT) | instid1(VALU_DEP_2)
	v_pk_fma_f32 v[4:5], v[4:5], s[4:5], 0 op_sel_hi:[1,0,0]
	v_cvt_f32_u32_e32 v6, v3
	s_delay_alu instid0(VALU_DEP_2) | instskip(NEXT) | instid1(VALU_DEP_1)
	v_pk_mul_f32 v[4:5], v[4:5], v[4:5]
	v_dual_cndmask_b32 v2, v9, v2 :: v_dual_add_f32 v3, v4, v5
	s_delay_alu instid0(VALU_DEP_1) | instskip(NEXT) | instid1(VALU_DEP_2)
	v_add_nc_u32_e32 v2, v2, v7
	v_cmp_gt_f32_e32 vcc_lo, 0xf800000, v3
	s_delay_alu instid0(VALU_DEP_2) | instskip(NEXT) | instid1(VALU_DEP_1)
	v_add_nc_u32_e32 v7, -1, v2
	v_cvt_f32_u32_e32 v7, v7
	s_delay_alu instid0(VALU_DEP_1) | instskip(SKIP_1) | instid1(VALU_DEP_2)
	v_pk_fma_f32 v[4:5], v[6:7], s[4:5], 0 op_sel_hi:[1,0,0]
	v_mul_f32_e32 v6, 0x4f800000, v3
	v_pk_mul_f32 v[4:5], v[4:5], v[4:5]
	s_delay_alu instid0(VALU_DEP_1) | instskip(NEXT) | instid1(VALU_DEP_1)
	v_dual_add_f32 v4, v4, v5 :: v_dual_cndmask_b32 v3, v3, v6
	v_mul_f32_e32 v6, 0x4f800000, v4
	s_delay_alu instid0(VALU_DEP_2)
	v_sqrt_f32_e32 v5, v3
	v_cmp_gt_f32_e64 s2, 0xf800000, v4
	s_delay_alu instid0(TRANS32_DEP_1) | instid1(VALU_DEP_1)
	v_dual_cndmask_b32 v4, v4, v6, s2 :: v_dual_add_nc_u32 v7, -1, v5
	v_add_nc_u32_e32 v6, 1, v5
	s_delay_alu instid0(VALU_DEP_2) | instskip(NEXT) | instid1(VALU_DEP_2)
	v_sqrt_f32_e32 v10, v4
	v_fma_f32 v9, -v7, v5, v3
	s_delay_alu instid0(VALU_DEP_1) | instskip(NEXT) | instid1(VALU_DEP_1)
	v_cmp_ge_f32_e64 s3, 0, v9
	v_dual_fma_f32 v11, -v6, v5, v3 :: v_dual_cndmask_b32 v5, v5, v7, s3
	s_delay_alu instid0(VALU_DEP_1) | instskip(NEXT) | instid1(TRANS32_DEP_1)
	v_cmp_lt_f32_e64 s3, 0, v11
	v_add_nc_u32_e32 v7, -1, v10
	s_delay_alu instid0(VALU_DEP_2) | instskip(NEXT) | instid1(VALU_DEP_2)
	v_cndmask_b32_e64 v5, v5, v6, s3
	v_dual_add_nc_u32 v6, 1, v10 :: v_dual_fma_f32 v9, -v7, v10, v4
	s_delay_alu instid0(VALU_DEP_1) | instskip(NEXT) | instid1(VALU_DEP_2)
	v_fma_f32 v12, -v6, v10, v4
	v_cmp_ge_f32_e64 s3, 0, v9
	s_delay_alu instid0(VALU_DEP_1) | instskip(SKIP_1) | instid1(VALU_DEP_4)
	v_cndmask_b32_e64 v7, v10, v7, s3
	v_mul_f32_e32 v11, 0x37800000, v5
	v_cmp_lt_f32_e64 s3, 0, v12
	s_delay_alu instid0(VALU_DEP_1) | instskip(SKIP_1) | instid1(VALU_DEP_2)
	v_dual_cndmask_b32 v5, v5, v11, vcc_lo :: v_dual_cndmask_b32 v6, v7, v6, s3
	v_cmp_class_f32_e64 vcc_lo, v3, 0x260
	v_cndmask_b32_e32 v3, v5, v3, vcc_lo
	s_delay_alu instid0(VALU_DEP_3) | instskip(NEXT) | instid1(VALU_DEP_2)
	v_mul_f32_e32 v5, 0x37800000, v6
	v_cmp_nge_f32_e32 vcc_lo, 1.0, v3
	s_delay_alu instid0(VALU_DEP_2) | instskip(SKIP_2) | instid1(VALU_DEP_1)
	v_cndmask_b32_e64 v3, v6, v5, s2
	v_cndmask_b32_e32 v1, v8, v1, vcc_lo
	v_cmp_class_f32_e64 vcc_lo, v4, 0x260
	v_dual_add_f32 v5, 1.0, v1 :: v_dual_cndmask_b32 v3, v3, v4, vcc_lo
	s_delay_alu instid0(VALU_DEP_1) | instskip(NEXT) | instid1(VALU_DEP_2)
	v_cmp_nge_f32_e32 vcc_lo, 1.0, v3
	v_cndmask_b32_e32 v1, v5, v1, vcc_lo
	s_cbranch_scc1 .LBB27_466
; %bb.467:
	s_delay_alu instid0(VALU_DEP_1) | instskip(SKIP_1) | instid1(VALU_DEP_1)
	v_mul_f32_e32 v1, 4.0, v1
	s_mov_b32 s2, exec_lo
	v_div_scale_f32 v2, null, 0x461c4000, 0x461c4000, v1
	s_delay_alu instid0(VALU_DEP_1) | instskip(SKIP_1) | instid1(TRANS32_DEP_1)
	v_rcp_f32_e32 v3, v2
	v_nop
	v_fma_f32 v4, -v2, v3, 1.0
	s_delay_alu instid0(VALU_DEP_1) | instskip(SKIP_1) | instid1(VALU_DEP_1)
	v_fmac_f32_e32 v3, v4, v3
	v_div_scale_f32 v5, vcc_lo, v1, 0x461c4000, v1
	v_mul_f32_e32 v4, v5, v3
	s_delay_alu instid0(VALU_DEP_1) | instskip(NEXT) | instid1(VALU_DEP_1)
	v_fma_f32 v6, -v2, v4, v5
	v_fmac_f32_e32 v4, v6, v3
	s_delay_alu instid0(VALU_DEP_1) | instskip(NEXT) | instid1(VALU_DEP_1)
	v_fma_f32 v2, -v2, v4, v5
	v_div_fmas_f32 v2, v2, v3, v4
	s_delay_alu instid0(VALU_DEP_1) | instskip(NEXT) | instid1(VALU_DEP_1)
	v_div_fixup_f32 v1, v2, 0x461c4000, v1
	v_mov_b32_dpp v2, v1 quad_perm:[1,0,3,2] row_mask:0xf bank_mask:0xf
	s_delay_alu instid0(VALU_DEP_1) | instskip(NEXT) | instid1(VALU_DEP_1)
	v_add_f32_e32 v1, v1, v2
	v_mov_b32_dpp v2, v1 quad_perm:[2,3,0,1] row_mask:0xf bank_mask:0xf
	s_delay_alu instid0(VALU_DEP_1) | instskip(NEXT) | instid1(VALU_DEP_1)
	v_add_f32_e32 v1, v1, v2
	v_mov_b32_dpp v2, v1 row_ror:4 row_mask:0xf bank_mask:0xf
	s_delay_alu instid0(VALU_DEP_1) | instskip(NEXT) | instid1(VALU_DEP_1)
	v_add_f32_e32 v1, v1, v2
	v_mov_b32_dpp v2, v1 row_ror:8 row_mask:0xf bank_mask:0xf
	s_delay_alu instid0(VALU_DEP_1)
	v_add_f32_e32 v1, v1, v2
	ds_swizzle_b32 v2, v1 offset:swizzle(BROADCAST,32,15)
	s_wait_dscnt 0x0
	v_dual_add_f32 v1, v1, v2 :: v_dual_mov_b32 v2, 0
	ds_bpermute_b32 v1, v2, v1 offset:124
	v_mbcnt_lo_u32_b32 v2, -1, 0
	s_delay_alu instid0(VALU_DEP_1)
	v_cmpx_eq_u32_e32 0, v2
	s_cbranch_execz .LBB27_469
; %bb.468:
	v_lshrrev_b32_e32 v3, 3, v0
	s_delay_alu instid0(VALU_DEP_1)
	v_and_b32_e32 v3, 28, v3
	s_wait_dscnt 0x0
	ds_store_b32 v3, v1 offset:32
.LBB27_469:
	s_or_b32 exec_lo, exec_lo, s2
	s_delay_alu instid0(SALU_CYCLE_1)
	s_mov_b32 s2, exec_lo
	s_wait_dscnt 0x0
	s_barrier_signal -1
	s_barrier_wait -1
	v_cmpx_gt_u32_e32 32, v0
	s_cbranch_execz .LBB27_471
; %bb.470:
	v_and_b32_e32 v1, 7, v2
	s_delay_alu instid0(VALU_DEP_1) | instskip(SKIP_1) | instid1(VALU_DEP_1)
	v_cmp_ne_u32_e32 vcc_lo, 7, v1
	v_add_co_ci_u32_e64 v4, null, 0, v2, vcc_lo
	v_lshlrev_b32_e32 v4, 2, v4
	v_cmp_gt_u32_e32 vcc_lo, 6, v1
	v_lshlrev_b32_e32 v3, 2, v1
	v_cndmask_b32_e64 v1, 0, 2, vcc_lo
	s_delay_alu instid0(VALU_DEP_1)
	v_add_lshl_u32 v1, v1, v2, 2
	v_lshlrev_b32_e32 v2, 2, v2
	ds_load_b32 v3, v3 offset:32
	v_or_b32_e32 v2, 16, v2
	s_wait_dscnt 0x0
	ds_bpermute_b32 v4, v4, v3
	s_wait_dscnt 0x0
	v_add_f32_e32 v3, v3, v4
	ds_bpermute_b32 v1, v1, v3
	s_wait_dscnt 0x0
	v_add_f32_e32 v1, v3, v1
	;; [unrolled: 3-line block ×3, first 2 shown]
.LBB27_471:
	s_or_b32 exec_lo, exec_lo, s2
.LBB27_472:
	v_cmp_eq_u32_e64 s2, 0, v0
	s_and_saveexec_b32 s3, s2
	s_cbranch_execnz .LBB27_475
	s_branch .LBB27_476
.LBB27_473:
                                        ; implicit-def: $vgpr1
                                        ; implicit-def: $sgpr40_sgpr41
.LBB27_474:
	s_delay_alu instid0(VALU_DEP_1)
	s_and_saveexec_b32 s3, s2
	s_cbranch_execz .LBB27_476
.LBB27_475:
	s_load_b32 s2, s[0:1], 0x20
	s_wait_xcnt 0x0
	s_lshl_b64 s[0:1], s[40:41], 2
	s_cmp_eq_u64 s[36:37], 0
	s_add_nc_u64 s[0:1], s[38:39], s[0:1]
	s_cselect_b32 s3, -1, 0
	s_wait_kmcnt 0x0
	v_dual_add_f32 v0, s2, v1 :: v_dual_mov_b32 v1, 0
	s_delay_alu instid0(VALU_DEP_1)
	v_cndmask_b32_e64 v0, v0, s2, s3
	global_store_b32 v1, v0, s[0:1]
.LBB27_476:
	s_endpgm
.LBB27_477:
                                        ; implicit-def: $vgpr1
	s_cbranch_execz .LBB27_472
; %bb.478:
	s_sub_co_i32 s6, s36, s5
	s_mov_b32 s7, exec_lo
                                        ; implicit-def: $vgpr1
	v_cmpx_gt_u32_e64 s6, v0
	s_cbranch_execz .LBB27_482
; %bb.479:
	v_add3_u32 v1, s43, s5, v0
	s_movk_i32 s5, 0x2710
	s_brev_b32 s4, 12
	s_delay_alu instid0(VALU_DEP_1) | instskip(NEXT) | instid1(VALU_DEP_1)
	v_lshlrev_b32_e32 v2, 12, v1
	v_add3_u32 v1, v1, v2, 0x7ed55d16
	s_delay_alu instid0(VALU_DEP_1) | instskip(NEXT) | instid1(VALU_DEP_1)
	v_lshrrev_b32_e32 v2, 19, v1
	v_xor3_b32 v1, v1, v2, 0xc761c23c
	s_delay_alu instid0(VALU_DEP_1) | instskip(NEXT) | instid1(VALU_DEP_1)
	v_lshl_add_u32 v1, v1, 5, v1
	v_add_nc_u32_e32 v2, 0xe9f8cc1d, v1
	v_lshl_add_u32 v1, v1, 9, 0xaccf6200
	s_delay_alu instid0(VALU_DEP_1) | instskip(NEXT) | instid1(VALU_DEP_1)
	v_xor_b32_e32 v1, v2, v1
	v_lshlrev_b32_e32 v2, 3, v1
	s_delay_alu instid0(VALU_DEP_1) | instskip(NEXT) | instid1(VALU_DEP_1)
	v_add3_u32 v1, v1, v2, 0xfd7046c5
	v_lshrrev_b32_e32 v2, 16, v1
	s_delay_alu instid0(VALU_DEP_1) | instskip(NEXT) | instid1(VALU_DEP_1)
	v_xor3_b32 v1, v1, v2, 0xb55a4f09
	v_mul_hi_u32 v2, v1, 3
	s_delay_alu instid0(VALU_DEP_1) | instskip(NEXT) | instid1(VALU_DEP_1)
	v_sub_nc_u32_e32 v3, v1, v2
	v_lshrrev_b32_e32 v3, 1, v3
	s_delay_alu instid0(VALU_DEP_1) | instskip(NEXT) | instid1(VALU_DEP_1)
	v_add_nc_u32_e32 v2, v3, v2
	v_lshrrev_b32_e32 v2, 30, v2
	s_delay_alu instid0(VALU_DEP_1) | instskip(NEXT) | instid1(VALU_DEP_1)
	v_mul_lo_u32 v2, 0x7fffffff, v2
	v_sub_nc_u32_e32 v1, v1, v2
	s_delay_alu instid0(VALU_DEP_1)
	v_max_u32_e32 v2, 1, v1
	v_mov_b32_e32 v1, 0
.LBB27_480:                             ; =>This Inner Loop Header: Depth=1
	s_delay_alu instid0(VALU_DEP_2) | instskip(NEXT) | instid1(VALU_DEP_1)
	v_mul_hi_u32 v3, 0xbc8f1391, v2
	v_dual_add_f32 v8, 1.0, v1 :: v_dual_lshrrev_b32 v3, 15, v3
	s_delay_alu instid0(VALU_DEP_1) | instskip(NEXT) | instid1(VALU_DEP_1)
	v_mul_u32_u24_e32 v4, 0xadc8, v3
	v_sub_nc_u32_e32 v2, v2, v4
	v_mul_u32_u24_e32 v3, 0xd47, v3
	s_delay_alu instid0(VALU_DEP_2) | instskip(NEXT) | instid1(VALU_DEP_2)
	v_mul_lo_u32 v2, 0xbc8f, v2
	v_xor_b32_e32 v4, 0x7fffffff, v3
	v_sub_nc_u32_e32 v5, 0, v3
	s_delay_alu instid0(VALU_DEP_3) | instskip(NEXT) | instid1(VALU_DEP_2)
	v_cmp_lt_u32_e32 vcc_lo, v2, v3
	v_cndmask_b32_e32 v3, v5, v4, vcc_lo
	s_delay_alu instid0(VALU_DEP_1) | instskip(NEXT) | instid1(VALU_DEP_1)
	v_add_nc_u32_e32 v2, v3, v2
	v_mul_hi_u32 v3, 0xbc8f1391, v2
	s_delay_alu instid0(VALU_DEP_1) | instskip(NEXT) | instid1(VALU_DEP_1)
	v_lshrrev_b32_e32 v3, 15, v3
	v_mul_u32_u24_e32 v4, 0xadc8, v3
	v_mul_u32_u24_e32 v3, 0xd47, v3
	s_delay_alu instid0(VALU_DEP_2) | instskip(NEXT) | instid1(VALU_DEP_2)
	v_sub_nc_u32_e32 v4, v2, v4
	v_xor_b32_e32 v5, 0x7fffffff, v3
	v_add_nc_u32_e32 v2, -1, v2
	s_delay_alu instid0(VALU_DEP_3) | instskip(SKIP_1) | instid1(VALU_DEP_2)
	v_mul_lo_u32 v4, 0xbc8f, v4
	v_sub_nc_u32_e32 v6, 0, v3
	v_cmp_lt_u32_e32 vcc_lo, v4, v3
	s_delay_alu instid0(VALU_DEP_2) | instskip(NEXT) | instid1(VALU_DEP_1)
	v_cndmask_b32_e32 v3, v6, v5, vcc_lo
	v_add_nc_u32_e32 v3, v3, v4
	s_delay_alu instid0(VALU_DEP_1) | instskip(NEXT) | instid1(VALU_DEP_1)
	v_mul_hi_u32 v4, 0xbc8f1391, v3
	v_lshrrev_b32_e32 v4, 15, v4
	s_delay_alu instid0(VALU_DEP_1) | instskip(SKIP_1) | instid1(VALU_DEP_2)
	v_mul_u32_u24_e32 v5, 0xadc8, v4
	v_mul_u32_u24_e32 v4, 0xd47, v4
	v_sub_nc_u32_e32 v5, v3, v5
	s_delay_alu instid0(VALU_DEP_2) | instskip(SKIP_1) | instid1(VALU_DEP_3)
	v_xor_b32_e32 v6, 0x7fffffff, v4
	v_dual_sub_nc_u32 v7, 0, v4 :: v_dual_add_nc_u32 v3, -1, v3
	v_mul_lo_u32 v5, 0xbc8f, v5
	s_delay_alu instid0(VALU_DEP_1) | instskip(NEXT) | instid1(VALU_DEP_3)
	v_cmp_lt_u32_e32 vcc_lo, v5, v4
	v_cndmask_b32_e32 v4, v7, v6, vcc_lo
	s_delay_alu instid0(VALU_DEP_1) | instskip(NEXT) | instid1(VALU_DEP_1)
	v_add_nc_u32_e32 v6, v4, v5
	v_mul_hi_u32 v4, 0xbc8f1391, v6
	s_delay_alu instid0(VALU_DEP_1) | instskip(NEXT) | instid1(VALU_DEP_1)
	v_lshrrev_b32_e32 v4, 15, v4
	v_mul_u32_u24_e32 v5, 0xadc8, v4
	s_delay_alu instid0(VALU_DEP_1) | instskip(NEXT) | instid1(VALU_DEP_1)
	v_sub_nc_u32_e32 v5, v6, v5
	v_mul_lo_u32 v7, 0xbc8f, v5
	v_mul_u32_u24_e32 v5, 0xd47, v4
	v_cvt_f32_u32_e32 v4, v2
	s_delay_alu instid0(VALU_DEP_2) | instskip(SKIP_4) | instid1(VALU_DEP_2)
	v_xor_b32_e32 v2, 0x7fffffff, v5
	v_sub_nc_u32_e32 v9, 0, v5
	v_cmp_lt_u32_e32 vcc_lo, v7, v5
	v_cvt_f32_u32_e32 v5, v3
	v_add_nc_u32_e32 v3, -1, v6
	v_pk_fma_f32 v[4:5], v[4:5], s[4:5], 0 op_sel_hi:[1,0,0]
	s_delay_alu instid0(VALU_DEP_2) | instskip(NEXT) | instid1(VALU_DEP_2)
	v_cvt_f32_u32_e32 v6, v3
	v_pk_mul_f32 v[4:5], v[4:5], v[4:5]
	s_delay_alu instid0(VALU_DEP_1) | instskip(NEXT) | instid1(VALU_DEP_1)
	v_dual_cndmask_b32 v2, v9, v2 :: v_dual_add_f32 v3, v4, v5
	v_add_nc_u32_e32 v2, v2, v7
	s_delay_alu instid0(VALU_DEP_2) | instskip(NEXT) | instid1(VALU_DEP_2)
	v_cmp_gt_f32_e32 vcc_lo, 0xf800000, v3
	v_add_nc_u32_e32 v7, -1, v2
	s_delay_alu instid0(VALU_DEP_1) | instskip(NEXT) | instid1(VALU_DEP_1)
	v_cvt_f32_u32_e32 v7, v7
	v_pk_fma_f32 v[4:5], v[6:7], s[4:5], 0 op_sel_hi:[1,0,0]
	v_mul_f32_e32 v6, 0x4f800000, v3
	s_add_co_i32 s5, s5, -2
	s_delay_alu instid0(SALU_CYCLE_1) | instskip(NEXT) | instid1(VALU_DEP_2)
	s_cmp_lg_u32 s5, 0
	v_pk_mul_f32 v[4:5], v[4:5], v[4:5]
	s_delay_alu instid0(VALU_DEP_1) | instskip(NEXT) | instid1(VALU_DEP_1)
	v_dual_add_f32 v4, v4, v5 :: v_dual_cndmask_b32 v3, v3, v6
	v_mul_f32_e32 v6, 0x4f800000, v4
	s_delay_alu instid0(VALU_DEP_2)
	v_sqrt_f32_e32 v5, v3
	v_cmp_gt_f32_e64 s2, 0xf800000, v4
	s_delay_alu instid0(TRANS32_DEP_1) | instid1(VALU_DEP_1)
	v_dual_cndmask_b32 v4, v4, v6, s2 :: v_dual_add_nc_u32 v7, -1, v5
	v_add_nc_u32_e32 v6, 1, v5
	s_delay_alu instid0(VALU_DEP_2) | instskip(NEXT) | instid1(VALU_DEP_2)
	v_sqrt_f32_e32 v10, v4
	v_fma_f32 v9, -v7, v5, v3
	s_delay_alu instid0(VALU_DEP_1) | instskip(NEXT) | instid1(VALU_DEP_1)
	v_cmp_ge_f32_e64 s3, 0, v9
	v_dual_fma_f32 v11, -v6, v5, v3 :: v_dual_cndmask_b32 v5, v5, v7, s3
	s_delay_alu instid0(VALU_DEP_1) | instskip(NEXT) | instid1(TRANS32_DEP_1)
	v_cmp_lt_f32_e64 s3, 0, v11
	v_add_nc_u32_e32 v7, -1, v10
	s_delay_alu instid0(VALU_DEP_2) | instskip(NEXT) | instid1(VALU_DEP_2)
	v_cndmask_b32_e64 v5, v5, v6, s3
	v_dual_add_nc_u32 v6, 1, v10 :: v_dual_fma_f32 v9, -v7, v10, v4
	s_delay_alu instid0(VALU_DEP_1) | instskip(NEXT) | instid1(VALU_DEP_2)
	v_fma_f32 v12, -v6, v10, v4
	v_cmp_ge_f32_e64 s3, 0, v9
	s_delay_alu instid0(VALU_DEP_1) | instskip(SKIP_1) | instid1(VALU_DEP_4)
	v_cndmask_b32_e64 v7, v10, v7, s3
	v_mul_f32_e32 v11, 0x37800000, v5
	v_cmp_lt_f32_e64 s3, 0, v12
	s_delay_alu instid0(VALU_DEP_1) | instskip(SKIP_1) | instid1(VALU_DEP_2)
	v_dual_cndmask_b32 v5, v5, v11, vcc_lo :: v_dual_cndmask_b32 v6, v7, v6, s3
	v_cmp_class_f32_e64 vcc_lo, v3, 0x260
	v_cndmask_b32_e32 v3, v5, v3, vcc_lo
	s_delay_alu instid0(VALU_DEP_3) | instskip(NEXT) | instid1(VALU_DEP_2)
	v_mul_f32_e32 v5, 0x37800000, v6
	v_cmp_nge_f32_e32 vcc_lo, 1.0, v3
	s_delay_alu instid0(VALU_DEP_2) | instskip(SKIP_2) | instid1(VALU_DEP_1)
	v_cndmask_b32_e64 v3, v6, v5, s2
	v_cndmask_b32_e32 v1, v8, v1, vcc_lo
	v_cmp_class_f32_e64 vcc_lo, v4, 0x260
	v_dual_add_f32 v5, 1.0, v1 :: v_dual_cndmask_b32 v3, v3, v4, vcc_lo
	s_delay_alu instid0(VALU_DEP_1) | instskip(NEXT) | instid1(VALU_DEP_2)
	v_cmp_nge_f32_e32 vcc_lo, 1.0, v3
	v_cndmask_b32_e32 v1, v5, v1, vcc_lo
	s_cbranch_scc1 .LBB27_480
; %bb.481:
	s_delay_alu instid0(VALU_DEP_1) | instskip(NEXT) | instid1(VALU_DEP_1)
	v_mul_f32_e32 v1, 4.0, v1
	v_div_scale_f32 v2, null, 0x461c4000, 0x461c4000, v1
	s_delay_alu instid0(VALU_DEP_1) | instskip(SKIP_1) | instid1(TRANS32_DEP_1)
	v_rcp_f32_e32 v3, v2
	v_nop
	v_fma_f32 v4, -v2, v3, 1.0
	s_delay_alu instid0(VALU_DEP_1) | instskip(SKIP_1) | instid1(VALU_DEP_1)
	v_fmac_f32_e32 v3, v4, v3
	v_div_scale_f32 v4, vcc_lo, v1, 0x461c4000, v1
	v_mul_f32_e32 v5, v4, v3
	s_delay_alu instid0(VALU_DEP_1) | instskip(NEXT) | instid1(VALU_DEP_1)
	v_fma_f32 v6, -v2, v5, v4
	v_fmac_f32_e32 v5, v6, v3
	s_delay_alu instid0(VALU_DEP_1) | instskip(NEXT) | instid1(VALU_DEP_1)
	v_fma_f32 v2, -v2, v5, v4
	v_div_fmas_f32 v2, v2, v3, v5
	s_delay_alu instid0(VALU_DEP_1)
	v_div_fixup_f32 v1, v2, 0x461c4000, v1
.LBB27_482:
	s_or_b32 exec_lo, exec_lo, s7
	v_mbcnt_lo_u32_b32 v2, -1, 0
	v_and_b32_e32 v4, 0xe0, v0
	s_min_u32 s3, s6, 0x100
	s_delay_alu instid0(VALU_DEP_2) | instskip(NEXT) | instid1(VALU_DEP_2)
	v_cmp_ne_u32_e32 vcc_lo, 31, v2
	v_sub_nc_u32_e64 v4, s3, v4 clamp
	v_cmp_gt_u32_e64 s2, 28, v2
	v_dual_add_nc_u32 v6, 1, v2 :: v_dual_add_nc_u32 v7, 2, v2
	v_add_co_ci_u32_e64 v3, null, 0, v2, vcc_lo
	v_cmp_gt_u32_e32 vcc_lo, 30, v2
	s_delay_alu instid0(VALU_DEP_2)
	v_lshlrev_b32_e32 v3, 2, v3
	v_cndmask_b32_e64 v5, 0, 2, vcc_lo
	v_cmp_lt_u32_e32 vcc_lo, v6, v4
	v_cndmask_b32_e64 v6, 0, 4, s2
	ds_bpermute_b32 v3, v3, v1
	v_cmp_lt_u32_e64 s2, v7, v4
	v_add_lshl_u32 v5, v5, v2, 2
	v_add_nc_u32_e32 v7, 4, v2
	v_add_lshl_u32 v6, v6, v2, 2
	s_wait_dscnt 0x0
	v_add_f32_e32 v3, v1, v3
	s_delay_alu instid0(VALU_DEP_1) | instskip(SKIP_3) | instid1(VALU_DEP_1)
	v_cndmask_b32_e32 v3, v1, v3, vcc_lo
	ds_bpermute_b32 v5, v5, v3
	s_wait_dscnt 0x0
	v_add_f32_e32 v5, v3, v5
	v_cndmask_b32_e64 v3, v3, v5, s2
	v_cmp_gt_u32_e64 s2, 24, v2
	ds_bpermute_b32 v5, v6, v3
	v_cndmask_b32_e64 v6, 0, 8, s2
	v_cmp_lt_u32_e64 s2, v7, v4
	v_add_nc_u32_e32 v7, 8, v2
	s_delay_alu instid0(VALU_DEP_3) | instskip(SKIP_2) | instid1(VALU_DEP_1)
	v_add_lshl_u32 v6, v6, v2, 2
	s_wait_dscnt 0x0
	v_add_f32_e32 v5, v3, v5
	v_cndmask_b32_e64 v5, v3, v5, s2
	v_cmp_lt_u32_e64 s2, v7, v4
	v_dual_add_nc_u32 v7, 16, v2 :: v_dual_lshlrev_b32 v3, 2, v2
	ds_bpermute_b32 v6, v6, v5
	s_wait_dscnt 0x0
	v_dual_add_f32 v6, v5, v6 :: v_dual_bitop2_b32 v8, 64, v3 bitop3:0x54
	s_delay_alu instid0(VALU_DEP_1) | instskip(SKIP_4) | instid1(VALU_DEP_1)
	v_cndmask_b32_e64 v5, v5, v6, s2
	v_cmp_lt_u32_e64 s2, v7, v4
	ds_bpermute_b32 v6, v8, v5
	s_wait_dscnt 0x0
	v_add_f32_e32 v6, v5, v6
	v_cndmask_b32_e64 v4, v5, v6, s2
	s_mov_b32 s2, exec_lo
	s_delay_alu instid0(VALU_DEP_1)
	v_cndmask_b32_e32 v1, v1, v4, vcc_lo
	v_cmpx_eq_u32_e32 0, v2
; %bb.483:
	v_lshrrev_b32_e32 v4, 3, v0
	s_delay_alu instid0(VALU_DEP_1)
	v_and_b32_e32 v4, 28, v4
	ds_store_b32 v4, v1 offset:192
; %bb.484:
	s_or_b32 exec_lo, exec_lo, s2
	s_delay_alu instid0(SALU_CYCLE_1)
	s_mov_b32 s4, exec_lo
	s_wait_dscnt 0x0
	s_barrier_signal -1
	s_barrier_wait -1
	v_cmpx_gt_u32_e32 8, v0
	s_cbranch_execz .LBB27_486
; %bb.485:
	ds_load_b32 v1, v3 offset:192
	v_and_b32_e32 v4, 7, v2
	s_add_co_i32 s3, s3, 31
	v_or_b32_e32 v3, 16, v3
	s_lshr_b32 s3, s3, 5
	s_delay_alu instid0(VALU_DEP_2) | instskip(SKIP_1) | instid1(VALU_DEP_1)
	v_cmp_ne_u32_e32 vcc_lo, 7, v4
	v_add_co_ci_u32_e64 v5, null, 0, v2, vcc_lo
	v_lshlrev_b32_e32 v5, 2, v5
	v_cmp_gt_u32_e32 vcc_lo, 6, v4
	s_wait_dscnt 0x0
	ds_bpermute_b32 v5, v5, v1
	v_add_nc_u32_e32 v7, 1, v4
	v_cndmask_b32_e64 v6, 0, 2, vcc_lo
	s_delay_alu instid0(VALU_DEP_1) | instskip(SKIP_1) | instid1(VALU_DEP_1)
	v_add_lshl_u32 v2, v6, v2, 2
	v_dual_add_nc_u32 v6, 2, v4 :: v_dual_add_nc_u32 v4, 4, v4
	v_cmp_gt_u32_e64 s2, s3, v6
	s_wait_dscnt 0x0
	v_add_f32_e32 v5, v1, v5
	v_cmp_gt_u32_e32 vcc_lo, s3, v7
	s_delay_alu instid0(VALU_DEP_2) | instskip(SKIP_3) | instid1(VALU_DEP_1)
	v_cndmask_b32_e32 v5, v1, v5, vcc_lo
	ds_bpermute_b32 v2, v2, v5
	s_wait_dscnt 0x0
	v_add_f32_e32 v2, v5, v2
	v_cndmask_b32_e64 v2, v5, v2, s2
	v_cmp_gt_u32_e64 s2, s3, v4
	ds_bpermute_b32 v3, v3, v2
	s_wait_dscnt 0x0
	v_add_f32_e32 v3, v2, v3
	s_delay_alu instid0(VALU_DEP_1) | instskip(NEXT) | instid1(VALU_DEP_1)
	v_cndmask_b32_e64 v2, v2, v3, s2
	v_cndmask_b32_e32 v1, v1, v2, vcc_lo
.LBB27_486:
	s_or_b32 exec_lo, exec_lo, s4
	v_cmp_eq_u32_e64 s2, 0, v0
	s_and_saveexec_b32 s3, s2
	s_cbranch_execnz .LBB27_475
	s_branch .LBB27_476
	.section	.rodata,"a",@progbits
	.p2align	6, 0x0
	.amdhsa_kernel _ZN7rocprim17ROCPRIM_400000_NS6detail17trampoline_kernelINS0_14default_configENS1_22reduce_config_selectorIfEEZNS1_11reduce_implILb1ES3_N6thrust23THRUST_200600_302600_NS11hip_rocprim26transform_input_iterator_tIfNS8_17counting_iteratorIiNS8_11use_defaultESC_SC_EE11estimate_piEEPffNS8_4plusIfEEEE10hipError_tPvRmT1_T2_T3_mT4_P12ihipStream_tbEUlT_E1_NS1_11comp_targetILNS1_3genE0ELNS1_11target_archE4294967295ELNS1_3gpuE0ELNS1_3repE0EEENS1_30default_config_static_selectorELNS0_4arch9wavefront6targetE0EEEvSM_
		.amdhsa_group_segment_fixed_size 224
		.amdhsa_private_segment_fixed_size 0
		.amdhsa_kernarg_size 40
		.amdhsa_user_sgpr_count 2
		.amdhsa_user_sgpr_dispatch_ptr 0
		.amdhsa_user_sgpr_queue_ptr 0
		.amdhsa_user_sgpr_kernarg_segment_ptr 1
		.amdhsa_user_sgpr_dispatch_id 0
		.amdhsa_user_sgpr_kernarg_preload_length 0
		.amdhsa_user_sgpr_kernarg_preload_offset 0
		.amdhsa_user_sgpr_private_segment_size 0
		.amdhsa_wavefront_size32 1
		.amdhsa_uses_dynamic_stack 0
		.amdhsa_enable_private_segment 0
		.amdhsa_system_sgpr_workgroup_id_x 1
		.amdhsa_system_sgpr_workgroup_id_y 0
		.amdhsa_system_sgpr_workgroup_id_z 0
		.amdhsa_system_sgpr_workgroup_info 0
		.amdhsa_system_vgpr_workitem_id 0
		.amdhsa_next_free_vgpr 62
		.amdhsa_next_free_sgpr 49
		.amdhsa_named_barrier_count 0
		.amdhsa_reserve_vcc 1
		.amdhsa_float_round_mode_32 0
		.amdhsa_float_round_mode_16_64 0
		.amdhsa_float_denorm_mode_32 3
		.amdhsa_float_denorm_mode_16_64 3
		.amdhsa_fp16_overflow 0
		.amdhsa_memory_ordered 1
		.amdhsa_forward_progress 1
		.amdhsa_inst_pref_size 255
		.amdhsa_round_robin_scheduling 0
		.amdhsa_exception_fp_ieee_invalid_op 0
		.amdhsa_exception_fp_denorm_src 0
		.amdhsa_exception_fp_ieee_div_zero 0
		.amdhsa_exception_fp_ieee_overflow 0
		.amdhsa_exception_fp_ieee_underflow 0
		.amdhsa_exception_fp_ieee_inexact 0
		.amdhsa_exception_int_div_zero 0
	.end_amdhsa_kernel
	.section	.text._ZN7rocprim17ROCPRIM_400000_NS6detail17trampoline_kernelINS0_14default_configENS1_22reduce_config_selectorIfEEZNS1_11reduce_implILb1ES3_N6thrust23THRUST_200600_302600_NS11hip_rocprim26transform_input_iterator_tIfNS8_17counting_iteratorIiNS8_11use_defaultESC_SC_EE11estimate_piEEPffNS8_4plusIfEEEE10hipError_tPvRmT1_T2_T3_mT4_P12ihipStream_tbEUlT_E1_NS1_11comp_targetILNS1_3genE0ELNS1_11target_archE4294967295ELNS1_3gpuE0ELNS1_3repE0EEENS1_30default_config_static_selectorELNS0_4arch9wavefront6targetE0EEEvSM_,"axG",@progbits,_ZN7rocprim17ROCPRIM_400000_NS6detail17trampoline_kernelINS0_14default_configENS1_22reduce_config_selectorIfEEZNS1_11reduce_implILb1ES3_N6thrust23THRUST_200600_302600_NS11hip_rocprim26transform_input_iterator_tIfNS8_17counting_iteratorIiNS8_11use_defaultESC_SC_EE11estimate_piEEPffNS8_4plusIfEEEE10hipError_tPvRmT1_T2_T3_mT4_P12ihipStream_tbEUlT_E1_NS1_11comp_targetILNS1_3genE0ELNS1_11target_archE4294967295ELNS1_3gpuE0ELNS1_3repE0EEENS1_30default_config_static_selectorELNS0_4arch9wavefront6targetE0EEEvSM_,comdat
.Lfunc_end27:
	.size	_ZN7rocprim17ROCPRIM_400000_NS6detail17trampoline_kernelINS0_14default_configENS1_22reduce_config_selectorIfEEZNS1_11reduce_implILb1ES3_N6thrust23THRUST_200600_302600_NS11hip_rocprim26transform_input_iterator_tIfNS8_17counting_iteratorIiNS8_11use_defaultESC_SC_EE11estimate_piEEPffNS8_4plusIfEEEE10hipError_tPvRmT1_T2_T3_mT4_P12ihipStream_tbEUlT_E1_NS1_11comp_targetILNS1_3genE0ELNS1_11target_archE4294967295ELNS1_3gpuE0ELNS1_3repE0EEENS1_30default_config_static_selectorELNS0_4arch9wavefront6targetE0EEEvSM_, .Lfunc_end27-_ZN7rocprim17ROCPRIM_400000_NS6detail17trampoline_kernelINS0_14default_configENS1_22reduce_config_selectorIfEEZNS1_11reduce_implILb1ES3_N6thrust23THRUST_200600_302600_NS11hip_rocprim26transform_input_iterator_tIfNS8_17counting_iteratorIiNS8_11use_defaultESC_SC_EE11estimate_piEEPffNS8_4plusIfEEEE10hipError_tPvRmT1_T2_T3_mT4_P12ihipStream_tbEUlT_E1_NS1_11comp_targetILNS1_3genE0ELNS1_11target_archE4294967295ELNS1_3gpuE0ELNS1_3repE0EEENS1_30default_config_static_selectorELNS0_4arch9wavefront6targetE0EEEvSM_
                                        ; -- End function
	.set _ZN7rocprim17ROCPRIM_400000_NS6detail17trampoline_kernelINS0_14default_configENS1_22reduce_config_selectorIfEEZNS1_11reduce_implILb1ES3_N6thrust23THRUST_200600_302600_NS11hip_rocprim26transform_input_iterator_tIfNS8_17counting_iteratorIiNS8_11use_defaultESC_SC_EE11estimate_piEEPffNS8_4plusIfEEEE10hipError_tPvRmT1_T2_T3_mT4_P12ihipStream_tbEUlT_E1_NS1_11comp_targetILNS1_3genE0ELNS1_11target_archE4294967295ELNS1_3gpuE0ELNS1_3repE0EEENS1_30default_config_static_selectorELNS0_4arch9wavefront6targetE0EEEvSM_.num_vgpr, 62
	.set _ZN7rocprim17ROCPRIM_400000_NS6detail17trampoline_kernelINS0_14default_configENS1_22reduce_config_selectorIfEEZNS1_11reduce_implILb1ES3_N6thrust23THRUST_200600_302600_NS11hip_rocprim26transform_input_iterator_tIfNS8_17counting_iteratorIiNS8_11use_defaultESC_SC_EE11estimate_piEEPffNS8_4plusIfEEEE10hipError_tPvRmT1_T2_T3_mT4_P12ihipStream_tbEUlT_E1_NS1_11comp_targetILNS1_3genE0ELNS1_11target_archE4294967295ELNS1_3gpuE0ELNS1_3repE0EEENS1_30default_config_static_selectorELNS0_4arch9wavefront6targetE0EEEvSM_.num_agpr, 0
	.set _ZN7rocprim17ROCPRIM_400000_NS6detail17trampoline_kernelINS0_14default_configENS1_22reduce_config_selectorIfEEZNS1_11reduce_implILb1ES3_N6thrust23THRUST_200600_302600_NS11hip_rocprim26transform_input_iterator_tIfNS8_17counting_iteratorIiNS8_11use_defaultESC_SC_EE11estimate_piEEPffNS8_4plusIfEEEE10hipError_tPvRmT1_T2_T3_mT4_P12ihipStream_tbEUlT_E1_NS1_11comp_targetILNS1_3genE0ELNS1_11target_archE4294967295ELNS1_3gpuE0ELNS1_3repE0EEENS1_30default_config_static_selectorELNS0_4arch9wavefront6targetE0EEEvSM_.numbered_sgpr, 49
	.set _ZN7rocprim17ROCPRIM_400000_NS6detail17trampoline_kernelINS0_14default_configENS1_22reduce_config_selectorIfEEZNS1_11reduce_implILb1ES3_N6thrust23THRUST_200600_302600_NS11hip_rocprim26transform_input_iterator_tIfNS8_17counting_iteratorIiNS8_11use_defaultESC_SC_EE11estimate_piEEPffNS8_4plusIfEEEE10hipError_tPvRmT1_T2_T3_mT4_P12ihipStream_tbEUlT_E1_NS1_11comp_targetILNS1_3genE0ELNS1_11target_archE4294967295ELNS1_3gpuE0ELNS1_3repE0EEENS1_30default_config_static_selectorELNS0_4arch9wavefront6targetE0EEEvSM_.num_named_barrier, 0
	.set _ZN7rocprim17ROCPRIM_400000_NS6detail17trampoline_kernelINS0_14default_configENS1_22reduce_config_selectorIfEEZNS1_11reduce_implILb1ES3_N6thrust23THRUST_200600_302600_NS11hip_rocprim26transform_input_iterator_tIfNS8_17counting_iteratorIiNS8_11use_defaultESC_SC_EE11estimate_piEEPffNS8_4plusIfEEEE10hipError_tPvRmT1_T2_T3_mT4_P12ihipStream_tbEUlT_E1_NS1_11comp_targetILNS1_3genE0ELNS1_11target_archE4294967295ELNS1_3gpuE0ELNS1_3repE0EEENS1_30default_config_static_selectorELNS0_4arch9wavefront6targetE0EEEvSM_.private_seg_size, 0
	.set _ZN7rocprim17ROCPRIM_400000_NS6detail17trampoline_kernelINS0_14default_configENS1_22reduce_config_selectorIfEEZNS1_11reduce_implILb1ES3_N6thrust23THRUST_200600_302600_NS11hip_rocprim26transform_input_iterator_tIfNS8_17counting_iteratorIiNS8_11use_defaultESC_SC_EE11estimate_piEEPffNS8_4plusIfEEEE10hipError_tPvRmT1_T2_T3_mT4_P12ihipStream_tbEUlT_E1_NS1_11comp_targetILNS1_3genE0ELNS1_11target_archE4294967295ELNS1_3gpuE0ELNS1_3repE0EEENS1_30default_config_static_selectorELNS0_4arch9wavefront6targetE0EEEvSM_.uses_vcc, 1
	.set _ZN7rocprim17ROCPRIM_400000_NS6detail17trampoline_kernelINS0_14default_configENS1_22reduce_config_selectorIfEEZNS1_11reduce_implILb1ES3_N6thrust23THRUST_200600_302600_NS11hip_rocprim26transform_input_iterator_tIfNS8_17counting_iteratorIiNS8_11use_defaultESC_SC_EE11estimate_piEEPffNS8_4plusIfEEEE10hipError_tPvRmT1_T2_T3_mT4_P12ihipStream_tbEUlT_E1_NS1_11comp_targetILNS1_3genE0ELNS1_11target_archE4294967295ELNS1_3gpuE0ELNS1_3repE0EEENS1_30default_config_static_selectorELNS0_4arch9wavefront6targetE0EEEvSM_.uses_flat_scratch, 0
	.set _ZN7rocprim17ROCPRIM_400000_NS6detail17trampoline_kernelINS0_14default_configENS1_22reduce_config_selectorIfEEZNS1_11reduce_implILb1ES3_N6thrust23THRUST_200600_302600_NS11hip_rocprim26transform_input_iterator_tIfNS8_17counting_iteratorIiNS8_11use_defaultESC_SC_EE11estimate_piEEPffNS8_4plusIfEEEE10hipError_tPvRmT1_T2_T3_mT4_P12ihipStream_tbEUlT_E1_NS1_11comp_targetILNS1_3genE0ELNS1_11target_archE4294967295ELNS1_3gpuE0ELNS1_3repE0EEENS1_30default_config_static_selectorELNS0_4arch9wavefront6targetE0EEEvSM_.has_dyn_sized_stack, 0
	.set _ZN7rocprim17ROCPRIM_400000_NS6detail17trampoline_kernelINS0_14default_configENS1_22reduce_config_selectorIfEEZNS1_11reduce_implILb1ES3_N6thrust23THRUST_200600_302600_NS11hip_rocprim26transform_input_iterator_tIfNS8_17counting_iteratorIiNS8_11use_defaultESC_SC_EE11estimate_piEEPffNS8_4plusIfEEEE10hipError_tPvRmT1_T2_T3_mT4_P12ihipStream_tbEUlT_E1_NS1_11comp_targetILNS1_3genE0ELNS1_11target_archE4294967295ELNS1_3gpuE0ELNS1_3repE0EEENS1_30default_config_static_selectorELNS0_4arch9wavefront6targetE0EEEvSM_.has_recursion, 0
	.set _ZN7rocprim17ROCPRIM_400000_NS6detail17trampoline_kernelINS0_14default_configENS1_22reduce_config_selectorIfEEZNS1_11reduce_implILb1ES3_N6thrust23THRUST_200600_302600_NS11hip_rocprim26transform_input_iterator_tIfNS8_17counting_iteratorIiNS8_11use_defaultESC_SC_EE11estimate_piEEPffNS8_4plusIfEEEE10hipError_tPvRmT1_T2_T3_mT4_P12ihipStream_tbEUlT_E1_NS1_11comp_targetILNS1_3genE0ELNS1_11target_archE4294967295ELNS1_3gpuE0ELNS1_3repE0EEENS1_30default_config_static_selectorELNS0_4arch9wavefront6targetE0EEEvSM_.has_indirect_call, 0
	.section	.AMDGPU.csdata,"",@progbits
; Kernel info:
; codeLenInByte = 146420
; TotalNumSgprs: 51
; NumVgprs: 62
; ScratchSize: 0
; MemoryBound: 0
; FloatMode: 240
; IeeeMode: 1
; LDSByteSize: 224 bytes/workgroup (compile time only)
; SGPRBlocks: 0
; VGPRBlocks: 3
; NumSGPRsForWavesPerEU: 51
; NumVGPRsForWavesPerEU: 62
; NamedBarCnt: 0
; Occupancy: 16
; WaveLimiterHint : 0
; COMPUTE_PGM_RSRC2:SCRATCH_EN: 0
; COMPUTE_PGM_RSRC2:USER_SGPR: 2
; COMPUTE_PGM_RSRC2:TRAP_HANDLER: 0
; COMPUTE_PGM_RSRC2:TGID_X_EN: 1
; COMPUTE_PGM_RSRC2:TGID_Y_EN: 0
; COMPUTE_PGM_RSRC2:TGID_Z_EN: 0
; COMPUTE_PGM_RSRC2:TIDIG_COMP_CNT: 0
	.section	.text._ZN7rocprim17ROCPRIM_400000_NS6detail17trampoline_kernelINS0_14default_configENS1_22reduce_config_selectorIfEEZNS1_11reduce_implILb1ES3_N6thrust23THRUST_200600_302600_NS11hip_rocprim26transform_input_iterator_tIfNS8_17counting_iteratorIiNS8_11use_defaultESC_SC_EE11estimate_piEEPffNS8_4plusIfEEEE10hipError_tPvRmT1_T2_T3_mT4_P12ihipStream_tbEUlT_E1_NS1_11comp_targetILNS1_3genE5ELNS1_11target_archE942ELNS1_3gpuE9ELNS1_3repE0EEENS1_30default_config_static_selectorELNS0_4arch9wavefront6targetE0EEEvSM_,"axG",@progbits,_ZN7rocprim17ROCPRIM_400000_NS6detail17trampoline_kernelINS0_14default_configENS1_22reduce_config_selectorIfEEZNS1_11reduce_implILb1ES3_N6thrust23THRUST_200600_302600_NS11hip_rocprim26transform_input_iterator_tIfNS8_17counting_iteratorIiNS8_11use_defaultESC_SC_EE11estimate_piEEPffNS8_4plusIfEEEE10hipError_tPvRmT1_T2_T3_mT4_P12ihipStream_tbEUlT_E1_NS1_11comp_targetILNS1_3genE5ELNS1_11target_archE942ELNS1_3gpuE9ELNS1_3repE0EEENS1_30default_config_static_selectorELNS0_4arch9wavefront6targetE0EEEvSM_,comdat
	.protected	_ZN7rocprim17ROCPRIM_400000_NS6detail17trampoline_kernelINS0_14default_configENS1_22reduce_config_selectorIfEEZNS1_11reduce_implILb1ES3_N6thrust23THRUST_200600_302600_NS11hip_rocprim26transform_input_iterator_tIfNS8_17counting_iteratorIiNS8_11use_defaultESC_SC_EE11estimate_piEEPffNS8_4plusIfEEEE10hipError_tPvRmT1_T2_T3_mT4_P12ihipStream_tbEUlT_E1_NS1_11comp_targetILNS1_3genE5ELNS1_11target_archE942ELNS1_3gpuE9ELNS1_3repE0EEENS1_30default_config_static_selectorELNS0_4arch9wavefront6targetE0EEEvSM_ ; -- Begin function _ZN7rocprim17ROCPRIM_400000_NS6detail17trampoline_kernelINS0_14default_configENS1_22reduce_config_selectorIfEEZNS1_11reduce_implILb1ES3_N6thrust23THRUST_200600_302600_NS11hip_rocprim26transform_input_iterator_tIfNS8_17counting_iteratorIiNS8_11use_defaultESC_SC_EE11estimate_piEEPffNS8_4plusIfEEEE10hipError_tPvRmT1_T2_T3_mT4_P12ihipStream_tbEUlT_E1_NS1_11comp_targetILNS1_3genE5ELNS1_11target_archE942ELNS1_3gpuE9ELNS1_3repE0EEENS1_30default_config_static_selectorELNS0_4arch9wavefront6targetE0EEEvSM_
	.globl	_ZN7rocprim17ROCPRIM_400000_NS6detail17trampoline_kernelINS0_14default_configENS1_22reduce_config_selectorIfEEZNS1_11reduce_implILb1ES3_N6thrust23THRUST_200600_302600_NS11hip_rocprim26transform_input_iterator_tIfNS8_17counting_iteratorIiNS8_11use_defaultESC_SC_EE11estimate_piEEPffNS8_4plusIfEEEE10hipError_tPvRmT1_T2_T3_mT4_P12ihipStream_tbEUlT_E1_NS1_11comp_targetILNS1_3genE5ELNS1_11target_archE942ELNS1_3gpuE9ELNS1_3repE0EEENS1_30default_config_static_selectorELNS0_4arch9wavefront6targetE0EEEvSM_
	.p2align	8
	.type	_ZN7rocprim17ROCPRIM_400000_NS6detail17trampoline_kernelINS0_14default_configENS1_22reduce_config_selectorIfEEZNS1_11reduce_implILb1ES3_N6thrust23THRUST_200600_302600_NS11hip_rocprim26transform_input_iterator_tIfNS8_17counting_iteratorIiNS8_11use_defaultESC_SC_EE11estimate_piEEPffNS8_4plusIfEEEE10hipError_tPvRmT1_T2_T3_mT4_P12ihipStream_tbEUlT_E1_NS1_11comp_targetILNS1_3genE5ELNS1_11target_archE942ELNS1_3gpuE9ELNS1_3repE0EEENS1_30default_config_static_selectorELNS0_4arch9wavefront6targetE0EEEvSM_,@function
_ZN7rocprim17ROCPRIM_400000_NS6detail17trampoline_kernelINS0_14default_configENS1_22reduce_config_selectorIfEEZNS1_11reduce_implILb1ES3_N6thrust23THRUST_200600_302600_NS11hip_rocprim26transform_input_iterator_tIfNS8_17counting_iteratorIiNS8_11use_defaultESC_SC_EE11estimate_piEEPffNS8_4plusIfEEEE10hipError_tPvRmT1_T2_T3_mT4_P12ihipStream_tbEUlT_E1_NS1_11comp_targetILNS1_3genE5ELNS1_11target_archE942ELNS1_3gpuE9ELNS1_3repE0EEENS1_30default_config_static_selectorELNS0_4arch9wavefront6targetE0EEEvSM_: ; @_ZN7rocprim17ROCPRIM_400000_NS6detail17trampoline_kernelINS0_14default_configENS1_22reduce_config_selectorIfEEZNS1_11reduce_implILb1ES3_N6thrust23THRUST_200600_302600_NS11hip_rocprim26transform_input_iterator_tIfNS8_17counting_iteratorIiNS8_11use_defaultESC_SC_EE11estimate_piEEPffNS8_4plusIfEEEE10hipError_tPvRmT1_T2_T3_mT4_P12ihipStream_tbEUlT_E1_NS1_11comp_targetILNS1_3genE5ELNS1_11target_archE942ELNS1_3gpuE9ELNS1_3repE0EEENS1_30default_config_static_selectorELNS0_4arch9wavefront6targetE0EEEvSM_
; %bb.0:
	.section	.rodata,"a",@progbits
	.p2align	6, 0x0
	.amdhsa_kernel _ZN7rocprim17ROCPRIM_400000_NS6detail17trampoline_kernelINS0_14default_configENS1_22reduce_config_selectorIfEEZNS1_11reduce_implILb1ES3_N6thrust23THRUST_200600_302600_NS11hip_rocprim26transform_input_iterator_tIfNS8_17counting_iteratorIiNS8_11use_defaultESC_SC_EE11estimate_piEEPffNS8_4plusIfEEEE10hipError_tPvRmT1_T2_T3_mT4_P12ihipStream_tbEUlT_E1_NS1_11comp_targetILNS1_3genE5ELNS1_11target_archE942ELNS1_3gpuE9ELNS1_3repE0EEENS1_30default_config_static_selectorELNS0_4arch9wavefront6targetE0EEEvSM_
		.amdhsa_group_segment_fixed_size 0
		.amdhsa_private_segment_fixed_size 0
		.amdhsa_kernarg_size 40
		.amdhsa_user_sgpr_count 2
		.amdhsa_user_sgpr_dispatch_ptr 0
		.amdhsa_user_sgpr_queue_ptr 0
		.amdhsa_user_sgpr_kernarg_segment_ptr 1
		.amdhsa_user_sgpr_dispatch_id 0
		.amdhsa_user_sgpr_kernarg_preload_length 0
		.amdhsa_user_sgpr_kernarg_preload_offset 0
		.amdhsa_user_sgpr_private_segment_size 0
		.amdhsa_wavefront_size32 1
		.amdhsa_uses_dynamic_stack 0
		.amdhsa_enable_private_segment 0
		.amdhsa_system_sgpr_workgroup_id_x 1
		.amdhsa_system_sgpr_workgroup_id_y 0
		.amdhsa_system_sgpr_workgroup_id_z 0
		.amdhsa_system_sgpr_workgroup_info 0
		.amdhsa_system_vgpr_workitem_id 0
		.amdhsa_next_free_vgpr 1
		.amdhsa_next_free_sgpr 1
		.amdhsa_named_barrier_count 0
		.amdhsa_reserve_vcc 0
		.amdhsa_float_round_mode_32 0
		.amdhsa_float_round_mode_16_64 0
		.amdhsa_float_denorm_mode_32 3
		.amdhsa_float_denorm_mode_16_64 3
		.amdhsa_fp16_overflow 0
		.amdhsa_memory_ordered 1
		.amdhsa_forward_progress 1
		.amdhsa_inst_pref_size 0
		.amdhsa_round_robin_scheduling 0
		.amdhsa_exception_fp_ieee_invalid_op 0
		.amdhsa_exception_fp_denorm_src 0
		.amdhsa_exception_fp_ieee_div_zero 0
		.amdhsa_exception_fp_ieee_overflow 0
		.amdhsa_exception_fp_ieee_underflow 0
		.amdhsa_exception_fp_ieee_inexact 0
		.amdhsa_exception_int_div_zero 0
	.end_amdhsa_kernel
	.section	.text._ZN7rocprim17ROCPRIM_400000_NS6detail17trampoline_kernelINS0_14default_configENS1_22reduce_config_selectorIfEEZNS1_11reduce_implILb1ES3_N6thrust23THRUST_200600_302600_NS11hip_rocprim26transform_input_iterator_tIfNS8_17counting_iteratorIiNS8_11use_defaultESC_SC_EE11estimate_piEEPffNS8_4plusIfEEEE10hipError_tPvRmT1_T2_T3_mT4_P12ihipStream_tbEUlT_E1_NS1_11comp_targetILNS1_3genE5ELNS1_11target_archE942ELNS1_3gpuE9ELNS1_3repE0EEENS1_30default_config_static_selectorELNS0_4arch9wavefront6targetE0EEEvSM_,"axG",@progbits,_ZN7rocprim17ROCPRIM_400000_NS6detail17trampoline_kernelINS0_14default_configENS1_22reduce_config_selectorIfEEZNS1_11reduce_implILb1ES3_N6thrust23THRUST_200600_302600_NS11hip_rocprim26transform_input_iterator_tIfNS8_17counting_iteratorIiNS8_11use_defaultESC_SC_EE11estimate_piEEPffNS8_4plusIfEEEE10hipError_tPvRmT1_T2_T3_mT4_P12ihipStream_tbEUlT_E1_NS1_11comp_targetILNS1_3genE5ELNS1_11target_archE942ELNS1_3gpuE9ELNS1_3repE0EEENS1_30default_config_static_selectorELNS0_4arch9wavefront6targetE0EEEvSM_,comdat
.Lfunc_end28:
	.size	_ZN7rocprim17ROCPRIM_400000_NS6detail17trampoline_kernelINS0_14default_configENS1_22reduce_config_selectorIfEEZNS1_11reduce_implILb1ES3_N6thrust23THRUST_200600_302600_NS11hip_rocprim26transform_input_iterator_tIfNS8_17counting_iteratorIiNS8_11use_defaultESC_SC_EE11estimate_piEEPffNS8_4plusIfEEEE10hipError_tPvRmT1_T2_T3_mT4_P12ihipStream_tbEUlT_E1_NS1_11comp_targetILNS1_3genE5ELNS1_11target_archE942ELNS1_3gpuE9ELNS1_3repE0EEENS1_30default_config_static_selectorELNS0_4arch9wavefront6targetE0EEEvSM_, .Lfunc_end28-_ZN7rocprim17ROCPRIM_400000_NS6detail17trampoline_kernelINS0_14default_configENS1_22reduce_config_selectorIfEEZNS1_11reduce_implILb1ES3_N6thrust23THRUST_200600_302600_NS11hip_rocprim26transform_input_iterator_tIfNS8_17counting_iteratorIiNS8_11use_defaultESC_SC_EE11estimate_piEEPffNS8_4plusIfEEEE10hipError_tPvRmT1_T2_T3_mT4_P12ihipStream_tbEUlT_E1_NS1_11comp_targetILNS1_3genE5ELNS1_11target_archE942ELNS1_3gpuE9ELNS1_3repE0EEENS1_30default_config_static_selectorELNS0_4arch9wavefront6targetE0EEEvSM_
                                        ; -- End function
	.set _ZN7rocprim17ROCPRIM_400000_NS6detail17trampoline_kernelINS0_14default_configENS1_22reduce_config_selectorIfEEZNS1_11reduce_implILb1ES3_N6thrust23THRUST_200600_302600_NS11hip_rocprim26transform_input_iterator_tIfNS8_17counting_iteratorIiNS8_11use_defaultESC_SC_EE11estimate_piEEPffNS8_4plusIfEEEE10hipError_tPvRmT1_T2_T3_mT4_P12ihipStream_tbEUlT_E1_NS1_11comp_targetILNS1_3genE5ELNS1_11target_archE942ELNS1_3gpuE9ELNS1_3repE0EEENS1_30default_config_static_selectorELNS0_4arch9wavefront6targetE0EEEvSM_.num_vgpr, 0
	.set _ZN7rocprim17ROCPRIM_400000_NS6detail17trampoline_kernelINS0_14default_configENS1_22reduce_config_selectorIfEEZNS1_11reduce_implILb1ES3_N6thrust23THRUST_200600_302600_NS11hip_rocprim26transform_input_iterator_tIfNS8_17counting_iteratorIiNS8_11use_defaultESC_SC_EE11estimate_piEEPffNS8_4plusIfEEEE10hipError_tPvRmT1_T2_T3_mT4_P12ihipStream_tbEUlT_E1_NS1_11comp_targetILNS1_3genE5ELNS1_11target_archE942ELNS1_3gpuE9ELNS1_3repE0EEENS1_30default_config_static_selectorELNS0_4arch9wavefront6targetE0EEEvSM_.num_agpr, 0
	.set _ZN7rocprim17ROCPRIM_400000_NS6detail17trampoline_kernelINS0_14default_configENS1_22reduce_config_selectorIfEEZNS1_11reduce_implILb1ES3_N6thrust23THRUST_200600_302600_NS11hip_rocprim26transform_input_iterator_tIfNS8_17counting_iteratorIiNS8_11use_defaultESC_SC_EE11estimate_piEEPffNS8_4plusIfEEEE10hipError_tPvRmT1_T2_T3_mT4_P12ihipStream_tbEUlT_E1_NS1_11comp_targetILNS1_3genE5ELNS1_11target_archE942ELNS1_3gpuE9ELNS1_3repE0EEENS1_30default_config_static_selectorELNS0_4arch9wavefront6targetE0EEEvSM_.numbered_sgpr, 0
	.set _ZN7rocprim17ROCPRIM_400000_NS6detail17trampoline_kernelINS0_14default_configENS1_22reduce_config_selectorIfEEZNS1_11reduce_implILb1ES3_N6thrust23THRUST_200600_302600_NS11hip_rocprim26transform_input_iterator_tIfNS8_17counting_iteratorIiNS8_11use_defaultESC_SC_EE11estimate_piEEPffNS8_4plusIfEEEE10hipError_tPvRmT1_T2_T3_mT4_P12ihipStream_tbEUlT_E1_NS1_11comp_targetILNS1_3genE5ELNS1_11target_archE942ELNS1_3gpuE9ELNS1_3repE0EEENS1_30default_config_static_selectorELNS0_4arch9wavefront6targetE0EEEvSM_.num_named_barrier, 0
	.set _ZN7rocprim17ROCPRIM_400000_NS6detail17trampoline_kernelINS0_14default_configENS1_22reduce_config_selectorIfEEZNS1_11reduce_implILb1ES3_N6thrust23THRUST_200600_302600_NS11hip_rocprim26transform_input_iterator_tIfNS8_17counting_iteratorIiNS8_11use_defaultESC_SC_EE11estimate_piEEPffNS8_4plusIfEEEE10hipError_tPvRmT1_T2_T3_mT4_P12ihipStream_tbEUlT_E1_NS1_11comp_targetILNS1_3genE5ELNS1_11target_archE942ELNS1_3gpuE9ELNS1_3repE0EEENS1_30default_config_static_selectorELNS0_4arch9wavefront6targetE0EEEvSM_.private_seg_size, 0
	.set _ZN7rocprim17ROCPRIM_400000_NS6detail17trampoline_kernelINS0_14default_configENS1_22reduce_config_selectorIfEEZNS1_11reduce_implILb1ES3_N6thrust23THRUST_200600_302600_NS11hip_rocprim26transform_input_iterator_tIfNS8_17counting_iteratorIiNS8_11use_defaultESC_SC_EE11estimate_piEEPffNS8_4plusIfEEEE10hipError_tPvRmT1_T2_T3_mT4_P12ihipStream_tbEUlT_E1_NS1_11comp_targetILNS1_3genE5ELNS1_11target_archE942ELNS1_3gpuE9ELNS1_3repE0EEENS1_30default_config_static_selectorELNS0_4arch9wavefront6targetE0EEEvSM_.uses_vcc, 0
	.set _ZN7rocprim17ROCPRIM_400000_NS6detail17trampoline_kernelINS0_14default_configENS1_22reduce_config_selectorIfEEZNS1_11reduce_implILb1ES3_N6thrust23THRUST_200600_302600_NS11hip_rocprim26transform_input_iterator_tIfNS8_17counting_iteratorIiNS8_11use_defaultESC_SC_EE11estimate_piEEPffNS8_4plusIfEEEE10hipError_tPvRmT1_T2_T3_mT4_P12ihipStream_tbEUlT_E1_NS1_11comp_targetILNS1_3genE5ELNS1_11target_archE942ELNS1_3gpuE9ELNS1_3repE0EEENS1_30default_config_static_selectorELNS0_4arch9wavefront6targetE0EEEvSM_.uses_flat_scratch, 0
	.set _ZN7rocprim17ROCPRIM_400000_NS6detail17trampoline_kernelINS0_14default_configENS1_22reduce_config_selectorIfEEZNS1_11reduce_implILb1ES3_N6thrust23THRUST_200600_302600_NS11hip_rocprim26transform_input_iterator_tIfNS8_17counting_iteratorIiNS8_11use_defaultESC_SC_EE11estimate_piEEPffNS8_4plusIfEEEE10hipError_tPvRmT1_T2_T3_mT4_P12ihipStream_tbEUlT_E1_NS1_11comp_targetILNS1_3genE5ELNS1_11target_archE942ELNS1_3gpuE9ELNS1_3repE0EEENS1_30default_config_static_selectorELNS0_4arch9wavefront6targetE0EEEvSM_.has_dyn_sized_stack, 0
	.set _ZN7rocprim17ROCPRIM_400000_NS6detail17trampoline_kernelINS0_14default_configENS1_22reduce_config_selectorIfEEZNS1_11reduce_implILb1ES3_N6thrust23THRUST_200600_302600_NS11hip_rocprim26transform_input_iterator_tIfNS8_17counting_iteratorIiNS8_11use_defaultESC_SC_EE11estimate_piEEPffNS8_4plusIfEEEE10hipError_tPvRmT1_T2_T3_mT4_P12ihipStream_tbEUlT_E1_NS1_11comp_targetILNS1_3genE5ELNS1_11target_archE942ELNS1_3gpuE9ELNS1_3repE0EEENS1_30default_config_static_selectorELNS0_4arch9wavefront6targetE0EEEvSM_.has_recursion, 0
	.set _ZN7rocprim17ROCPRIM_400000_NS6detail17trampoline_kernelINS0_14default_configENS1_22reduce_config_selectorIfEEZNS1_11reduce_implILb1ES3_N6thrust23THRUST_200600_302600_NS11hip_rocprim26transform_input_iterator_tIfNS8_17counting_iteratorIiNS8_11use_defaultESC_SC_EE11estimate_piEEPffNS8_4plusIfEEEE10hipError_tPvRmT1_T2_T3_mT4_P12ihipStream_tbEUlT_E1_NS1_11comp_targetILNS1_3genE5ELNS1_11target_archE942ELNS1_3gpuE9ELNS1_3repE0EEENS1_30default_config_static_selectorELNS0_4arch9wavefront6targetE0EEEvSM_.has_indirect_call, 0
	.section	.AMDGPU.csdata,"",@progbits
; Kernel info:
; codeLenInByte = 0
; TotalNumSgprs: 0
; NumVgprs: 0
; ScratchSize: 0
; MemoryBound: 0
; FloatMode: 240
; IeeeMode: 1
; LDSByteSize: 0 bytes/workgroup (compile time only)
; SGPRBlocks: 0
; VGPRBlocks: 0
; NumSGPRsForWavesPerEU: 1
; NumVGPRsForWavesPerEU: 1
; NamedBarCnt: 0
; Occupancy: 16
; WaveLimiterHint : 0
; COMPUTE_PGM_RSRC2:SCRATCH_EN: 0
; COMPUTE_PGM_RSRC2:USER_SGPR: 2
; COMPUTE_PGM_RSRC2:TRAP_HANDLER: 0
; COMPUTE_PGM_RSRC2:TGID_X_EN: 1
; COMPUTE_PGM_RSRC2:TGID_Y_EN: 0
; COMPUTE_PGM_RSRC2:TGID_Z_EN: 0
; COMPUTE_PGM_RSRC2:TIDIG_COMP_CNT: 0
	.section	.text._ZN7rocprim17ROCPRIM_400000_NS6detail17trampoline_kernelINS0_14default_configENS1_22reduce_config_selectorIfEEZNS1_11reduce_implILb1ES3_N6thrust23THRUST_200600_302600_NS11hip_rocprim26transform_input_iterator_tIfNS8_17counting_iteratorIiNS8_11use_defaultESC_SC_EE11estimate_piEEPffNS8_4plusIfEEEE10hipError_tPvRmT1_T2_T3_mT4_P12ihipStream_tbEUlT_E1_NS1_11comp_targetILNS1_3genE4ELNS1_11target_archE910ELNS1_3gpuE8ELNS1_3repE0EEENS1_30default_config_static_selectorELNS0_4arch9wavefront6targetE0EEEvSM_,"axG",@progbits,_ZN7rocprim17ROCPRIM_400000_NS6detail17trampoline_kernelINS0_14default_configENS1_22reduce_config_selectorIfEEZNS1_11reduce_implILb1ES3_N6thrust23THRUST_200600_302600_NS11hip_rocprim26transform_input_iterator_tIfNS8_17counting_iteratorIiNS8_11use_defaultESC_SC_EE11estimate_piEEPffNS8_4plusIfEEEE10hipError_tPvRmT1_T2_T3_mT4_P12ihipStream_tbEUlT_E1_NS1_11comp_targetILNS1_3genE4ELNS1_11target_archE910ELNS1_3gpuE8ELNS1_3repE0EEENS1_30default_config_static_selectorELNS0_4arch9wavefront6targetE0EEEvSM_,comdat
	.protected	_ZN7rocprim17ROCPRIM_400000_NS6detail17trampoline_kernelINS0_14default_configENS1_22reduce_config_selectorIfEEZNS1_11reduce_implILb1ES3_N6thrust23THRUST_200600_302600_NS11hip_rocprim26transform_input_iterator_tIfNS8_17counting_iteratorIiNS8_11use_defaultESC_SC_EE11estimate_piEEPffNS8_4plusIfEEEE10hipError_tPvRmT1_T2_T3_mT4_P12ihipStream_tbEUlT_E1_NS1_11comp_targetILNS1_3genE4ELNS1_11target_archE910ELNS1_3gpuE8ELNS1_3repE0EEENS1_30default_config_static_selectorELNS0_4arch9wavefront6targetE0EEEvSM_ ; -- Begin function _ZN7rocprim17ROCPRIM_400000_NS6detail17trampoline_kernelINS0_14default_configENS1_22reduce_config_selectorIfEEZNS1_11reduce_implILb1ES3_N6thrust23THRUST_200600_302600_NS11hip_rocprim26transform_input_iterator_tIfNS8_17counting_iteratorIiNS8_11use_defaultESC_SC_EE11estimate_piEEPffNS8_4plusIfEEEE10hipError_tPvRmT1_T2_T3_mT4_P12ihipStream_tbEUlT_E1_NS1_11comp_targetILNS1_3genE4ELNS1_11target_archE910ELNS1_3gpuE8ELNS1_3repE0EEENS1_30default_config_static_selectorELNS0_4arch9wavefront6targetE0EEEvSM_
	.globl	_ZN7rocprim17ROCPRIM_400000_NS6detail17trampoline_kernelINS0_14default_configENS1_22reduce_config_selectorIfEEZNS1_11reduce_implILb1ES3_N6thrust23THRUST_200600_302600_NS11hip_rocprim26transform_input_iterator_tIfNS8_17counting_iteratorIiNS8_11use_defaultESC_SC_EE11estimate_piEEPffNS8_4plusIfEEEE10hipError_tPvRmT1_T2_T3_mT4_P12ihipStream_tbEUlT_E1_NS1_11comp_targetILNS1_3genE4ELNS1_11target_archE910ELNS1_3gpuE8ELNS1_3repE0EEENS1_30default_config_static_selectorELNS0_4arch9wavefront6targetE0EEEvSM_
	.p2align	8
	.type	_ZN7rocprim17ROCPRIM_400000_NS6detail17trampoline_kernelINS0_14default_configENS1_22reduce_config_selectorIfEEZNS1_11reduce_implILb1ES3_N6thrust23THRUST_200600_302600_NS11hip_rocprim26transform_input_iterator_tIfNS8_17counting_iteratorIiNS8_11use_defaultESC_SC_EE11estimate_piEEPffNS8_4plusIfEEEE10hipError_tPvRmT1_T2_T3_mT4_P12ihipStream_tbEUlT_E1_NS1_11comp_targetILNS1_3genE4ELNS1_11target_archE910ELNS1_3gpuE8ELNS1_3repE0EEENS1_30default_config_static_selectorELNS0_4arch9wavefront6targetE0EEEvSM_,@function
_ZN7rocprim17ROCPRIM_400000_NS6detail17trampoline_kernelINS0_14default_configENS1_22reduce_config_selectorIfEEZNS1_11reduce_implILb1ES3_N6thrust23THRUST_200600_302600_NS11hip_rocprim26transform_input_iterator_tIfNS8_17counting_iteratorIiNS8_11use_defaultESC_SC_EE11estimate_piEEPffNS8_4plusIfEEEE10hipError_tPvRmT1_T2_T3_mT4_P12ihipStream_tbEUlT_E1_NS1_11comp_targetILNS1_3genE4ELNS1_11target_archE910ELNS1_3gpuE8ELNS1_3repE0EEENS1_30default_config_static_selectorELNS0_4arch9wavefront6targetE0EEEvSM_: ; @_ZN7rocprim17ROCPRIM_400000_NS6detail17trampoline_kernelINS0_14default_configENS1_22reduce_config_selectorIfEEZNS1_11reduce_implILb1ES3_N6thrust23THRUST_200600_302600_NS11hip_rocprim26transform_input_iterator_tIfNS8_17counting_iteratorIiNS8_11use_defaultESC_SC_EE11estimate_piEEPffNS8_4plusIfEEEE10hipError_tPvRmT1_T2_T3_mT4_P12ihipStream_tbEUlT_E1_NS1_11comp_targetILNS1_3genE4ELNS1_11target_archE910ELNS1_3gpuE8ELNS1_3repE0EEENS1_30default_config_static_selectorELNS0_4arch9wavefront6targetE0EEEvSM_
; %bb.0:
	.section	.rodata,"a",@progbits
	.p2align	6, 0x0
	.amdhsa_kernel _ZN7rocprim17ROCPRIM_400000_NS6detail17trampoline_kernelINS0_14default_configENS1_22reduce_config_selectorIfEEZNS1_11reduce_implILb1ES3_N6thrust23THRUST_200600_302600_NS11hip_rocprim26transform_input_iterator_tIfNS8_17counting_iteratorIiNS8_11use_defaultESC_SC_EE11estimate_piEEPffNS8_4plusIfEEEE10hipError_tPvRmT1_T2_T3_mT4_P12ihipStream_tbEUlT_E1_NS1_11comp_targetILNS1_3genE4ELNS1_11target_archE910ELNS1_3gpuE8ELNS1_3repE0EEENS1_30default_config_static_selectorELNS0_4arch9wavefront6targetE0EEEvSM_
		.amdhsa_group_segment_fixed_size 0
		.amdhsa_private_segment_fixed_size 0
		.amdhsa_kernarg_size 40
		.amdhsa_user_sgpr_count 2
		.amdhsa_user_sgpr_dispatch_ptr 0
		.amdhsa_user_sgpr_queue_ptr 0
		.amdhsa_user_sgpr_kernarg_segment_ptr 1
		.amdhsa_user_sgpr_dispatch_id 0
		.amdhsa_user_sgpr_kernarg_preload_length 0
		.amdhsa_user_sgpr_kernarg_preload_offset 0
		.amdhsa_user_sgpr_private_segment_size 0
		.amdhsa_wavefront_size32 1
		.amdhsa_uses_dynamic_stack 0
		.amdhsa_enable_private_segment 0
		.amdhsa_system_sgpr_workgroup_id_x 1
		.amdhsa_system_sgpr_workgroup_id_y 0
		.amdhsa_system_sgpr_workgroup_id_z 0
		.amdhsa_system_sgpr_workgroup_info 0
		.amdhsa_system_vgpr_workitem_id 0
		.amdhsa_next_free_vgpr 1
		.amdhsa_next_free_sgpr 1
		.amdhsa_named_barrier_count 0
		.amdhsa_reserve_vcc 0
		.amdhsa_float_round_mode_32 0
		.amdhsa_float_round_mode_16_64 0
		.amdhsa_float_denorm_mode_32 3
		.amdhsa_float_denorm_mode_16_64 3
		.amdhsa_fp16_overflow 0
		.amdhsa_memory_ordered 1
		.amdhsa_forward_progress 1
		.amdhsa_inst_pref_size 0
		.amdhsa_round_robin_scheduling 0
		.amdhsa_exception_fp_ieee_invalid_op 0
		.amdhsa_exception_fp_denorm_src 0
		.amdhsa_exception_fp_ieee_div_zero 0
		.amdhsa_exception_fp_ieee_overflow 0
		.amdhsa_exception_fp_ieee_underflow 0
		.amdhsa_exception_fp_ieee_inexact 0
		.amdhsa_exception_int_div_zero 0
	.end_amdhsa_kernel
	.section	.text._ZN7rocprim17ROCPRIM_400000_NS6detail17trampoline_kernelINS0_14default_configENS1_22reduce_config_selectorIfEEZNS1_11reduce_implILb1ES3_N6thrust23THRUST_200600_302600_NS11hip_rocprim26transform_input_iterator_tIfNS8_17counting_iteratorIiNS8_11use_defaultESC_SC_EE11estimate_piEEPffNS8_4plusIfEEEE10hipError_tPvRmT1_T2_T3_mT4_P12ihipStream_tbEUlT_E1_NS1_11comp_targetILNS1_3genE4ELNS1_11target_archE910ELNS1_3gpuE8ELNS1_3repE0EEENS1_30default_config_static_selectorELNS0_4arch9wavefront6targetE0EEEvSM_,"axG",@progbits,_ZN7rocprim17ROCPRIM_400000_NS6detail17trampoline_kernelINS0_14default_configENS1_22reduce_config_selectorIfEEZNS1_11reduce_implILb1ES3_N6thrust23THRUST_200600_302600_NS11hip_rocprim26transform_input_iterator_tIfNS8_17counting_iteratorIiNS8_11use_defaultESC_SC_EE11estimate_piEEPffNS8_4plusIfEEEE10hipError_tPvRmT1_T2_T3_mT4_P12ihipStream_tbEUlT_E1_NS1_11comp_targetILNS1_3genE4ELNS1_11target_archE910ELNS1_3gpuE8ELNS1_3repE0EEENS1_30default_config_static_selectorELNS0_4arch9wavefront6targetE0EEEvSM_,comdat
.Lfunc_end29:
	.size	_ZN7rocprim17ROCPRIM_400000_NS6detail17trampoline_kernelINS0_14default_configENS1_22reduce_config_selectorIfEEZNS1_11reduce_implILb1ES3_N6thrust23THRUST_200600_302600_NS11hip_rocprim26transform_input_iterator_tIfNS8_17counting_iteratorIiNS8_11use_defaultESC_SC_EE11estimate_piEEPffNS8_4plusIfEEEE10hipError_tPvRmT1_T2_T3_mT4_P12ihipStream_tbEUlT_E1_NS1_11comp_targetILNS1_3genE4ELNS1_11target_archE910ELNS1_3gpuE8ELNS1_3repE0EEENS1_30default_config_static_selectorELNS0_4arch9wavefront6targetE0EEEvSM_, .Lfunc_end29-_ZN7rocprim17ROCPRIM_400000_NS6detail17trampoline_kernelINS0_14default_configENS1_22reduce_config_selectorIfEEZNS1_11reduce_implILb1ES3_N6thrust23THRUST_200600_302600_NS11hip_rocprim26transform_input_iterator_tIfNS8_17counting_iteratorIiNS8_11use_defaultESC_SC_EE11estimate_piEEPffNS8_4plusIfEEEE10hipError_tPvRmT1_T2_T3_mT4_P12ihipStream_tbEUlT_E1_NS1_11comp_targetILNS1_3genE4ELNS1_11target_archE910ELNS1_3gpuE8ELNS1_3repE0EEENS1_30default_config_static_selectorELNS0_4arch9wavefront6targetE0EEEvSM_
                                        ; -- End function
	.set _ZN7rocprim17ROCPRIM_400000_NS6detail17trampoline_kernelINS0_14default_configENS1_22reduce_config_selectorIfEEZNS1_11reduce_implILb1ES3_N6thrust23THRUST_200600_302600_NS11hip_rocprim26transform_input_iterator_tIfNS8_17counting_iteratorIiNS8_11use_defaultESC_SC_EE11estimate_piEEPffNS8_4plusIfEEEE10hipError_tPvRmT1_T2_T3_mT4_P12ihipStream_tbEUlT_E1_NS1_11comp_targetILNS1_3genE4ELNS1_11target_archE910ELNS1_3gpuE8ELNS1_3repE0EEENS1_30default_config_static_selectorELNS0_4arch9wavefront6targetE0EEEvSM_.num_vgpr, 0
	.set _ZN7rocprim17ROCPRIM_400000_NS6detail17trampoline_kernelINS0_14default_configENS1_22reduce_config_selectorIfEEZNS1_11reduce_implILb1ES3_N6thrust23THRUST_200600_302600_NS11hip_rocprim26transform_input_iterator_tIfNS8_17counting_iteratorIiNS8_11use_defaultESC_SC_EE11estimate_piEEPffNS8_4plusIfEEEE10hipError_tPvRmT1_T2_T3_mT4_P12ihipStream_tbEUlT_E1_NS1_11comp_targetILNS1_3genE4ELNS1_11target_archE910ELNS1_3gpuE8ELNS1_3repE0EEENS1_30default_config_static_selectorELNS0_4arch9wavefront6targetE0EEEvSM_.num_agpr, 0
	.set _ZN7rocprim17ROCPRIM_400000_NS6detail17trampoline_kernelINS0_14default_configENS1_22reduce_config_selectorIfEEZNS1_11reduce_implILb1ES3_N6thrust23THRUST_200600_302600_NS11hip_rocprim26transform_input_iterator_tIfNS8_17counting_iteratorIiNS8_11use_defaultESC_SC_EE11estimate_piEEPffNS8_4plusIfEEEE10hipError_tPvRmT1_T2_T3_mT4_P12ihipStream_tbEUlT_E1_NS1_11comp_targetILNS1_3genE4ELNS1_11target_archE910ELNS1_3gpuE8ELNS1_3repE0EEENS1_30default_config_static_selectorELNS0_4arch9wavefront6targetE0EEEvSM_.numbered_sgpr, 0
	.set _ZN7rocprim17ROCPRIM_400000_NS6detail17trampoline_kernelINS0_14default_configENS1_22reduce_config_selectorIfEEZNS1_11reduce_implILb1ES3_N6thrust23THRUST_200600_302600_NS11hip_rocprim26transform_input_iterator_tIfNS8_17counting_iteratorIiNS8_11use_defaultESC_SC_EE11estimate_piEEPffNS8_4plusIfEEEE10hipError_tPvRmT1_T2_T3_mT4_P12ihipStream_tbEUlT_E1_NS1_11comp_targetILNS1_3genE4ELNS1_11target_archE910ELNS1_3gpuE8ELNS1_3repE0EEENS1_30default_config_static_selectorELNS0_4arch9wavefront6targetE0EEEvSM_.num_named_barrier, 0
	.set _ZN7rocprim17ROCPRIM_400000_NS6detail17trampoline_kernelINS0_14default_configENS1_22reduce_config_selectorIfEEZNS1_11reduce_implILb1ES3_N6thrust23THRUST_200600_302600_NS11hip_rocprim26transform_input_iterator_tIfNS8_17counting_iteratorIiNS8_11use_defaultESC_SC_EE11estimate_piEEPffNS8_4plusIfEEEE10hipError_tPvRmT1_T2_T3_mT4_P12ihipStream_tbEUlT_E1_NS1_11comp_targetILNS1_3genE4ELNS1_11target_archE910ELNS1_3gpuE8ELNS1_3repE0EEENS1_30default_config_static_selectorELNS0_4arch9wavefront6targetE0EEEvSM_.private_seg_size, 0
	.set _ZN7rocprim17ROCPRIM_400000_NS6detail17trampoline_kernelINS0_14default_configENS1_22reduce_config_selectorIfEEZNS1_11reduce_implILb1ES3_N6thrust23THRUST_200600_302600_NS11hip_rocprim26transform_input_iterator_tIfNS8_17counting_iteratorIiNS8_11use_defaultESC_SC_EE11estimate_piEEPffNS8_4plusIfEEEE10hipError_tPvRmT1_T2_T3_mT4_P12ihipStream_tbEUlT_E1_NS1_11comp_targetILNS1_3genE4ELNS1_11target_archE910ELNS1_3gpuE8ELNS1_3repE0EEENS1_30default_config_static_selectorELNS0_4arch9wavefront6targetE0EEEvSM_.uses_vcc, 0
	.set _ZN7rocprim17ROCPRIM_400000_NS6detail17trampoline_kernelINS0_14default_configENS1_22reduce_config_selectorIfEEZNS1_11reduce_implILb1ES3_N6thrust23THRUST_200600_302600_NS11hip_rocprim26transform_input_iterator_tIfNS8_17counting_iteratorIiNS8_11use_defaultESC_SC_EE11estimate_piEEPffNS8_4plusIfEEEE10hipError_tPvRmT1_T2_T3_mT4_P12ihipStream_tbEUlT_E1_NS1_11comp_targetILNS1_3genE4ELNS1_11target_archE910ELNS1_3gpuE8ELNS1_3repE0EEENS1_30default_config_static_selectorELNS0_4arch9wavefront6targetE0EEEvSM_.uses_flat_scratch, 0
	.set _ZN7rocprim17ROCPRIM_400000_NS6detail17trampoline_kernelINS0_14default_configENS1_22reduce_config_selectorIfEEZNS1_11reduce_implILb1ES3_N6thrust23THRUST_200600_302600_NS11hip_rocprim26transform_input_iterator_tIfNS8_17counting_iteratorIiNS8_11use_defaultESC_SC_EE11estimate_piEEPffNS8_4plusIfEEEE10hipError_tPvRmT1_T2_T3_mT4_P12ihipStream_tbEUlT_E1_NS1_11comp_targetILNS1_3genE4ELNS1_11target_archE910ELNS1_3gpuE8ELNS1_3repE0EEENS1_30default_config_static_selectorELNS0_4arch9wavefront6targetE0EEEvSM_.has_dyn_sized_stack, 0
	.set _ZN7rocprim17ROCPRIM_400000_NS6detail17trampoline_kernelINS0_14default_configENS1_22reduce_config_selectorIfEEZNS1_11reduce_implILb1ES3_N6thrust23THRUST_200600_302600_NS11hip_rocprim26transform_input_iterator_tIfNS8_17counting_iteratorIiNS8_11use_defaultESC_SC_EE11estimate_piEEPffNS8_4plusIfEEEE10hipError_tPvRmT1_T2_T3_mT4_P12ihipStream_tbEUlT_E1_NS1_11comp_targetILNS1_3genE4ELNS1_11target_archE910ELNS1_3gpuE8ELNS1_3repE0EEENS1_30default_config_static_selectorELNS0_4arch9wavefront6targetE0EEEvSM_.has_recursion, 0
	.set _ZN7rocprim17ROCPRIM_400000_NS6detail17trampoline_kernelINS0_14default_configENS1_22reduce_config_selectorIfEEZNS1_11reduce_implILb1ES3_N6thrust23THRUST_200600_302600_NS11hip_rocprim26transform_input_iterator_tIfNS8_17counting_iteratorIiNS8_11use_defaultESC_SC_EE11estimate_piEEPffNS8_4plusIfEEEE10hipError_tPvRmT1_T2_T3_mT4_P12ihipStream_tbEUlT_E1_NS1_11comp_targetILNS1_3genE4ELNS1_11target_archE910ELNS1_3gpuE8ELNS1_3repE0EEENS1_30default_config_static_selectorELNS0_4arch9wavefront6targetE0EEEvSM_.has_indirect_call, 0
	.section	.AMDGPU.csdata,"",@progbits
; Kernel info:
; codeLenInByte = 0
; TotalNumSgprs: 0
; NumVgprs: 0
; ScratchSize: 0
; MemoryBound: 0
; FloatMode: 240
; IeeeMode: 1
; LDSByteSize: 0 bytes/workgroup (compile time only)
; SGPRBlocks: 0
; VGPRBlocks: 0
; NumSGPRsForWavesPerEU: 1
; NumVGPRsForWavesPerEU: 1
; NamedBarCnt: 0
; Occupancy: 16
; WaveLimiterHint : 0
; COMPUTE_PGM_RSRC2:SCRATCH_EN: 0
; COMPUTE_PGM_RSRC2:USER_SGPR: 2
; COMPUTE_PGM_RSRC2:TRAP_HANDLER: 0
; COMPUTE_PGM_RSRC2:TGID_X_EN: 1
; COMPUTE_PGM_RSRC2:TGID_Y_EN: 0
; COMPUTE_PGM_RSRC2:TGID_Z_EN: 0
; COMPUTE_PGM_RSRC2:TIDIG_COMP_CNT: 0
	.section	.text._ZN7rocprim17ROCPRIM_400000_NS6detail17trampoline_kernelINS0_14default_configENS1_22reduce_config_selectorIfEEZNS1_11reduce_implILb1ES3_N6thrust23THRUST_200600_302600_NS11hip_rocprim26transform_input_iterator_tIfNS8_17counting_iteratorIiNS8_11use_defaultESC_SC_EE11estimate_piEEPffNS8_4plusIfEEEE10hipError_tPvRmT1_T2_T3_mT4_P12ihipStream_tbEUlT_E1_NS1_11comp_targetILNS1_3genE3ELNS1_11target_archE908ELNS1_3gpuE7ELNS1_3repE0EEENS1_30default_config_static_selectorELNS0_4arch9wavefront6targetE0EEEvSM_,"axG",@progbits,_ZN7rocprim17ROCPRIM_400000_NS6detail17trampoline_kernelINS0_14default_configENS1_22reduce_config_selectorIfEEZNS1_11reduce_implILb1ES3_N6thrust23THRUST_200600_302600_NS11hip_rocprim26transform_input_iterator_tIfNS8_17counting_iteratorIiNS8_11use_defaultESC_SC_EE11estimate_piEEPffNS8_4plusIfEEEE10hipError_tPvRmT1_T2_T3_mT4_P12ihipStream_tbEUlT_E1_NS1_11comp_targetILNS1_3genE3ELNS1_11target_archE908ELNS1_3gpuE7ELNS1_3repE0EEENS1_30default_config_static_selectorELNS0_4arch9wavefront6targetE0EEEvSM_,comdat
	.protected	_ZN7rocprim17ROCPRIM_400000_NS6detail17trampoline_kernelINS0_14default_configENS1_22reduce_config_selectorIfEEZNS1_11reduce_implILb1ES3_N6thrust23THRUST_200600_302600_NS11hip_rocprim26transform_input_iterator_tIfNS8_17counting_iteratorIiNS8_11use_defaultESC_SC_EE11estimate_piEEPffNS8_4plusIfEEEE10hipError_tPvRmT1_T2_T3_mT4_P12ihipStream_tbEUlT_E1_NS1_11comp_targetILNS1_3genE3ELNS1_11target_archE908ELNS1_3gpuE7ELNS1_3repE0EEENS1_30default_config_static_selectorELNS0_4arch9wavefront6targetE0EEEvSM_ ; -- Begin function _ZN7rocprim17ROCPRIM_400000_NS6detail17trampoline_kernelINS0_14default_configENS1_22reduce_config_selectorIfEEZNS1_11reduce_implILb1ES3_N6thrust23THRUST_200600_302600_NS11hip_rocprim26transform_input_iterator_tIfNS8_17counting_iteratorIiNS8_11use_defaultESC_SC_EE11estimate_piEEPffNS8_4plusIfEEEE10hipError_tPvRmT1_T2_T3_mT4_P12ihipStream_tbEUlT_E1_NS1_11comp_targetILNS1_3genE3ELNS1_11target_archE908ELNS1_3gpuE7ELNS1_3repE0EEENS1_30default_config_static_selectorELNS0_4arch9wavefront6targetE0EEEvSM_
	.globl	_ZN7rocprim17ROCPRIM_400000_NS6detail17trampoline_kernelINS0_14default_configENS1_22reduce_config_selectorIfEEZNS1_11reduce_implILb1ES3_N6thrust23THRUST_200600_302600_NS11hip_rocprim26transform_input_iterator_tIfNS8_17counting_iteratorIiNS8_11use_defaultESC_SC_EE11estimate_piEEPffNS8_4plusIfEEEE10hipError_tPvRmT1_T2_T3_mT4_P12ihipStream_tbEUlT_E1_NS1_11comp_targetILNS1_3genE3ELNS1_11target_archE908ELNS1_3gpuE7ELNS1_3repE0EEENS1_30default_config_static_selectorELNS0_4arch9wavefront6targetE0EEEvSM_
	.p2align	8
	.type	_ZN7rocprim17ROCPRIM_400000_NS6detail17trampoline_kernelINS0_14default_configENS1_22reduce_config_selectorIfEEZNS1_11reduce_implILb1ES3_N6thrust23THRUST_200600_302600_NS11hip_rocprim26transform_input_iterator_tIfNS8_17counting_iteratorIiNS8_11use_defaultESC_SC_EE11estimate_piEEPffNS8_4plusIfEEEE10hipError_tPvRmT1_T2_T3_mT4_P12ihipStream_tbEUlT_E1_NS1_11comp_targetILNS1_3genE3ELNS1_11target_archE908ELNS1_3gpuE7ELNS1_3repE0EEENS1_30default_config_static_selectorELNS0_4arch9wavefront6targetE0EEEvSM_,@function
_ZN7rocprim17ROCPRIM_400000_NS6detail17trampoline_kernelINS0_14default_configENS1_22reduce_config_selectorIfEEZNS1_11reduce_implILb1ES3_N6thrust23THRUST_200600_302600_NS11hip_rocprim26transform_input_iterator_tIfNS8_17counting_iteratorIiNS8_11use_defaultESC_SC_EE11estimate_piEEPffNS8_4plusIfEEEE10hipError_tPvRmT1_T2_T3_mT4_P12ihipStream_tbEUlT_E1_NS1_11comp_targetILNS1_3genE3ELNS1_11target_archE908ELNS1_3gpuE7ELNS1_3repE0EEENS1_30default_config_static_selectorELNS0_4arch9wavefront6targetE0EEEvSM_: ; @_ZN7rocprim17ROCPRIM_400000_NS6detail17trampoline_kernelINS0_14default_configENS1_22reduce_config_selectorIfEEZNS1_11reduce_implILb1ES3_N6thrust23THRUST_200600_302600_NS11hip_rocprim26transform_input_iterator_tIfNS8_17counting_iteratorIiNS8_11use_defaultESC_SC_EE11estimate_piEEPffNS8_4plusIfEEEE10hipError_tPvRmT1_T2_T3_mT4_P12ihipStream_tbEUlT_E1_NS1_11comp_targetILNS1_3genE3ELNS1_11target_archE908ELNS1_3gpuE7ELNS1_3repE0EEENS1_30default_config_static_selectorELNS0_4arch9wavefront6targetE0EEEvSM_
; %bb.0:
	.section	.rodata,"a",@progbits
	.p2align	6, 0x0
	.amdhsa_kernel _ZN7rocprim17ROCPRIM_400000_NS6detail17trampoline_kernelINS0_14default_configENS1_22reduce_config_selectorIfEEZNS1_11reduce_implILb1ES3_N6thrust23THRUST_200600_302600_NS11hip_rocprim26transform_input_iterator_tIfNS8_17counting_iteratorIiNS8_11use_defaultESC_SC_EE11estimate_piEEPffNS8_4plusIfEEEE10hipError_tPvRmT1_T2_T3_mT4_P12ihipStream_tbEUlT_E1_NS1_11comp_targetILNS1_3genE3ELNS1_11target_archE908ELNS1_3gpuE7ELNS1_3repE0EEENS1_30default_config_static_selectorELNS0_4arch9wavefront6targetE0EEEvSM_
		.amdhsa_group_segment_fixed_size 0
		.amdhsa_private_segment_fixed_size 0
		.amdhsa_kernarg_size 40
		.amdhsa_user_sgpr_count 2
		.amdhsa_user_sgpr_dispatch_ptr 0
		.amdhsa_user_sgpr_queue_ptr 0
		.amdhsa_user_sgpr_kernarg_segment_ptr 1
		.amdhsa_user_sgpr_dispatch_id 0
		.amdhsa_user_sgpr_kernarg_preload_length 0
		.amdhsa_user_sgpr_kernarg_preload_offset 0
		.amdhsa_user_sgpr_private_segment_size 0
		.amdhsa_wavefront_size32 1
		.amdhsa_uses_dynamic_stack 0
		.amdhsa_enable_private_segment 0
		.amdhsa_system_sgpr_workgroup_id_x 1
		.amdhsa_system_sgpr_workgroup_id_y 0
		.amdhsa_system_sgpr_workgroup_id_z 0
		.amdhsa_system_sgpr_workgroup_info 0
		.amdhsa_system_vgpr_workitem_id 0
		.amdhsa_next_free_vgpr 1
		.amdhsa_next_free_sgpr 1
		.amdhsa_named_barrier_count 0
		.amdhsa_reserve_vcc 0
		.amdhsa_float_round_mode_32 0
		.amdhsa_float_round_mode_16_64 0
		.amdhsa_float_denorm_mode_32 3
		.amdhsa_float_denorm_mode_16_64 3
		.amdhsa_fp16_overflow 0
		.amdhsa_memory_ordered 1
		.amdhsa_forward_progress 1
		.amdhsa_inst_pref_size 0
		.amdhsa_round_robin_scheduling 0
		.amdhsa_exception_fp_ieee_invalid_op 0
		.amdhsa_exception_fp_denorm_src 0
		.amdhsa_exception_fp_ieee_div_zero 0
		.amdhsa_exception_fp_ieee_overflow 0
		.amdhsa_exception_fp_ieee_underflow 0
		.amdhsa_exception_fp_ieee_inexact 0
		.amdhsa_exception_int_div_zero 0
	.end_amdhsa_kernel
	.section	.text._ZN7rocprim17ROCPRIM_400000_NS6detail17trampoline_kernelINS0_14default_configENS1_22reduce_config_selectorIfEEZNS1_11reduce_implILb1ES3_N6thrust23THRUST_200600_302600_NS11hip_rocprim26transform_input_iterator_tIfNS8_17counting_iteratorIiNS8_11use_defaultESC_SC_EE11estimate_piEEPffNS8_4plusIfEEEE10hipError_tPvRmT1_T2_T3_mT4_P12ihipStream_tbEUlT_E1_NS1_11comp_targetILNS1_3genE3ELNS1_11target_archE908ELNS1_3gpuE7ELNS1_3repE0EEENS1_30default_config_static_selectorELNS0_4arch9wavefront6targetE0EEEvSM_,"axG",@progbits,_ZN7rocprim17ROCPRIM_400000_NS6detail17trampoline_kernelINS0_14default_configENS1_22reduce_config_selectorIfEEZNS1_11reduce_implILb1ES3_N6thrust23THRUST_200600_302600_NS11hip_rocprim26transform_input_iterator_tIfNS8_17counting_iteratorIiNS8_11use_defaultESC_SC_EE11estimate_piEEPffNS8_4plusIfEEEE10hipError_tPvRmT1_T2_T3_mT4_P12ihipStream_tbEUlT_E1_NS1_11comp_targetILNS1_3genE3ELNS1_11target_archE908ELNS1_3gpuE7ELNS1_3repE0EEENS1_30default_config_static_selectorELNS0_4arch9wavefront6targetE0EEEvSM_,comdat
.Lfunc_end30:
	.size	_ZN7rocprim17ROCPRIM_400000_NS6detail17trampoline_kernelINS0_14default_configENS1_22reduce_config_selectorIfEEZNS1_11reduce_implILb1ES3_N6thrust23THRUST_200600_302600_NS11hip_rocprim26transform_input_iterator_tIfNS8_17counting_iteratorIiNS8_11use_defaultESC_SC_EE11estimate_piEEPffNS8_4plusIfEEEE10hipError_tPvRmT1_T2_T3_mT4_P12ihipStream_tbEUlT_E1_NS1_11comp_targetILNS1_3genE3ELNS1_11target_archE908ELNS1_3gpuE7ELNS1_3repE0EEENS1_30default_config_static_selectorELNS0_4arch9wavefront6targetE0EEEvSM_, .Lfunc_end30-_ZN7rocprim17ROCPRIM_400000_NS6detail17trampoline_kernelINS0_14default_configENS1_22reduce_config_selectorIfEEZNS1_11reduce_implILb1ES3_N6thrust23THRUST_200600_302600_NS11hip_rocprim26transform_input_iterator_tIfNS8_17counting_iteratorIiNS8_11use_defaultESC_SC_EE11estimate_piEEPffNS8_4plusIfEEEE10hipError_tPvRmT1_T2_T3_mT4_P12ihipStream_tbEUlT_E1_NS1_11comp_targetILNS1_3genE3ELNS1_11target_archE908ELNS1_3gpuE7ELNS1_3repE0EEENS1_30default_config_static_selectorELNS0_4arch9wavefront6targetE0EEEvSM_
                                        ; -- End function
	.set _ZN7rocprim17ROCPRIM_400000_NS6detail17trampoline_kernelINS0_14default_configENS1_22reduce_config_selectorIfEEZNS1_11reduce_implILb1ES3_N6thrust23THRUST_200600_302600_NS11hip_rocprim26transform_input_iterator_tIfNS8_17counting_iteratorIiNS8_11use_defaultESC_SC_EE11estimate_piEEPffNS8_4plusIfEEEE10hipError_tPvRmT1_T2_T3_mT4_P12ihipStream_tbEUlT_E1_NS1_11comp_targetILNS1_3genE3ELNS1_11target_archE908ELNS1_3gpuE7ELNS1_3repE0EEENS1_30default_config_static_selectorELNS0_4arch9wavefront6targetE0EEEvSM_.num_vgpr, 0
	.set _ZN7rocprim17ROCPRIM_400000_NS6detail17trampoline_kernelINS0_14default_configENS1_22reduce_config_selectorIfEEZNS1_11reduce_implILb1ES3_N6thrust23THRUST_200600_302600_NS11hip_rocprim26transform_input_iterator_tIfNS8_17counting_iteratorIiNS8_11use_defaultESC_SC_EE11estimate_piEEPffNS8_4plusIfEEEE10hipError_tPvRmT1_T2_T3_mT4_P12ihipStream_tbEUlT_E1_NS1_11comp_targetILNS1_3genE3ELNS1_11target_archE908ELNS1_3gpuE7ELNS1_3repE0EEENS1_30default_config_static_selectorELNS0_4arch9wavefront6targetE0EEEvSM_.num_agpr, 0
	.set _ZN7rocprim17ROCPRIM_400000_NS6detail17trampoline_kernelINS0_14default_configENS1_22reduce_config_selectorIfEEZNS1_11reduce_implILb1ES3_N6thrust23THRUST_200600_302600_NS11hip_rocprim26transform_input_iterator_tIfNS8_17counting_iteratorIiNS8_11use_defaultESC_SC_EE11estimate_piEEPffNS8_4plusIfEEEE10hipError_tPvRmT1_T2_T3_mT4_P12ihipStream_tbEUlT_E1_NS1_11comp_targetILNS1_3genE3ELNS1_11target_archE908ELNS1_3gpuE7ELNS1_3repE0EEENS1_30default_config_static_selectorELNS0_4arch9wavefront6targetE0EEEvSM_.numbered_sgpr, 0
	.set _ZN7rocprim17ROCPRIM_400000_NS6detail17trampoline_kernelINS0_14default_configENS1_22reduce_config_selectorIfEEZNS1_11reduce_implILb1ES3_N6thrust23THRUST_200600_302600_NS11hip_rocprim26transform_input_iterator_tIfNS8_17counting_iteratorIiNS8_11use_defaultESC_SC_EE11estimate_piEEPffNS8_4plusIfEEEE10hipError_tPvRmT1_T2_T3_mT4_P12ihipStream_tbEUlT_E1_NS1_11comp_targetILNS1_3genE3ELNS1_11target_archE908ELNS1_3gpuE7ELNS1_3repE0EEENS1_30default_config_static_selectorELNS0_4arch9wavefront6targetE0EEEvSM_.num_named_barrier, 0
	.set _ZN7rocprim17ROCPRIM_400000_NS6detail17trampoline_kernelINS0_14default_configENS1_22reduce_config_selectorIfEEZNS1_11reduce_implILb1ES3_N6thrust23THRUST_200600_302600_NS11hip_rocprim26transform_input_iterator_tIfNS8_17counting_iteratorIiNS8_11use_defaultESC_SC_EE11estimate_piEEPffNS8_4plusIfEEEE10hipError_tPvRmT1_T2_T3_mT4_P12ihipStream_tbEUlT_E1_NS1_11comp_targetILNS1_3genE3ELNS1_11target_archE908ELNS1_3gpuE7ELNS1_3repE0EEENS1_30default_config_static_selectorELNS0_4arch9wavefront6targetE0EEEvSM_.private_seg_size, 0
	.set _ZN7rocprim17ROCPRIM_400000_NS6detail17trampoline_kernelINS0_14default_configENS1_22reduce_config_selectorIfEEZNS1_11reduce_implILb1ES3_N6thrust23THRUST_200600_302600_NS11hip_rocprim26transform_input_iterator_tIfNS8_17counting_iteratorIiNS8_11use_defaultESC_SC_EE11estimate_piEEPffNS8_4plusIfEEEE10hipError_tPvRmT1_T2_T3_mT4_P12ihipStream_tbEUlT_E1_NS1_11comp_targetILNS1_3genE3ELNS1_11target_archE908ELNS1_3gpuE7ELNS1_3repE0EEENS1_30default_config_static_selectorELNS0_4arch9wavefront6targetE0EEEvSM_.uses_vcc, 0
	.set _ZN7rocprim17ROCPRIM_400000_NS6detail17trampoline_kernelINS0_14default_configENS1_22reduce_config_selectorIfEEZNS1_11reduce_implILb1ES3_N6thrust23THRUST_200600_302600_NS11hip_rocprim26transform_input_iterator_tIfNS8_17counting_iteratorIiNS8_11use_defaultESC_SC_EE11estimate_piEEPffNS8_4plusIfEEEE10hipError_tPvRmT1_T2_T3_mT4_P12ihipStream_tbEUlT_E1_NS1_11comp_targetILNS1_3genE3ELNS1_11target_archE908ELNS1_3gpuE7ELNS1_3repE0EEENS1_30default_config_static_selectorELNS0_4arch9wavefront6targetE0EEEvSM_.uses_flat_scratch, 0
	.set _ZN7rocprim17ROCPRIM_400000_NS6detail17trampoline_kernelINS0_14default_configENS1_22reduce_config_selectorIfEEZNS1_11reduce_implILb1ES3_N6thrust23THRUST_200600_302600_NS11hip_rocprim26transform_input_iterator_tIfNS8_17counting_iteratorIiNS8_11use_defaultESC_SC_EE11estimate_piEEPffNS8_4plusIfEEEE10hipError_tPvRmT1_T2_T3_mT4_P12ihipStream_tbEUlT_E1_NS1_11comp_targetILNS1_3genE3ELNS1_11target_archE908ELNS1_3gpuE7ELNS1_3repE0EEENS1_30default_config_static_selectorELNS0_4arch9wavefront6targetE0EEEvSM_.has_dyn_sized_stack, 0
	.set _ZN7rocprim17ROCPRIM_400000_NS6detail17trampoline_kernelINS0_14default_configENS1_22reduce_config_selectorIfEEZNS1_11reduce_implILb1ES3_N6thrust23THRUST_200600_302600_NS11hip_rocprim26transform_input_iterator_tIfNS8_17counting_iteratorIiNS8_11use_defaultESC_SC_EE11estimate_piEEPffNS8_4plusIfEEEE10hipError_tPvRmT1_T2_T3_mT4_P12ihipStream_tbEUlT_E1_NS1_11comp_targetILNS1_3genE3ELNS1_11target_archE908ELNS1_3gpuE7ELNS1_3repE0EEENS1_30default_config_static_selectorELNS0_4arch9wavefront6targetE0EEEvSM_.has_recursion, 0
	.set _ZN7rocprim17ROCPRIM_400000_NS6detail17trampoline_kernelINS0_14default_configENS1_22reduce_config_selectorIfEEZNS1_11reduce_implILb1ES3_N6thrust23THRUST_200600_302600_NS11hip_rocprim26transform_input_iterator_tIfNS8_17counting_iteratorIiNS8_11use_defaultESC_SC_EE11estimate_piEEPffNS8_4plusIfEEEE10hipError_tPvRmT1_T2_T3_mT4_P12ihipStream_tbEUlT_E1_NS1_11comp_targetILNS1_3genE3ELNS1_11target_archE908ELNS1_3gpuE7ELNS1_3repE0EEENS1_30default_config_static_selectorELNS0_4arch9wavefront6targetE0EEEvSM_.has_indirect_call, 0
	.section	.AMDGPU.csdata,"",@progbits
; Kernel info:
; codeLenInByte = 0
; TotalNumSgprs: 0
; NumVgprs: 0
; ScratchSize: 0
; MemoryBound: 0
; FloatMode: 240
; IeeeMode: 1
; LDSByteSize: 0 bytes/workgroup (compile time only)
; SGPRBlocks: 0
; VGPRBlocks: 0
; NumSGPRsForWavesPerEU: 1
; NumVGPRsForWavesPerEU: 1
; NamedBarCnt: 0
; Occupancy: 16
; WaveLimiterHint : 0
; COMPUTE_PGM_RSRC2:SCRATCH_EN: 0
; COMPUTE_PGM_RSRC2:USER_SGPR: 2
; COMPUTE_PGM_RSRC2:TRAP_HANDLER: 0
; COMPUTE_PGM_RSRC2:TGID_X_EN: 1
; COMPUTE_PGM_RSRC2:TGID_Y_EN: 0
; COMPUTE_PGM_RSRC2:TGID_Z_EN: 0
; COMPUTE_PGM_RSRC2:TIDIG_COMP_CNT: 0
	.section	.text._ZN7rocprim17ROCPRIM_400000_NS6detail17trampoline_kernelINS0_14default_configENS1_22reduce_config_selectorIfEEZNS1_11reduce_implILb1ES3_N6thrust23THRUST_200600_302600_NS11hip_rocprim26transform_input_iterator_tIfNS8_17counting_iteratorIiNS8_11use_defaultESC_SC_EE11estimate_piEEPffNS8_4plusIfEEEE10hipError_tPvRmT1_T2_T3_mT4_P12ihipStream_tbEUlT_E1_NS1_11comp_targetILNS1_3genE2ELNS1_11target_archE906ELNS1_3gpuE6ELNS1_3repE0EEENS1_30default_config_static_selectorELNS0_4arch9wavefront6targetE0EEEvSM_,"axG",@progbits,_ZN7rocprim17ROCPRIM_400000_NS6detail17trampoline_kernelINS0_14default_configENS1_22reduce_config_selectorIfEEZNS1_11reduce_implILb1ES3_N6thrust23THRUST_200600_302600_NS11hip_rocprim26transform_input_iterator_tIfNS8_17counting_iteratorIiNS8_11use_defaultESC_SC_EE11estimate_piEEPffNS8_4plusIfEEEE10hipError_tPvRmT1_T2_T3_mT4_P12ihipStream_tbEUlT_E1_NS1_11comp_targetILNS1_3genE2ELNS1_11target_archE906ELNS1_3gpuE6ELNS1_3repE0EEENS1_30default_config_static_selectorELNS0_4arch9wavefront6targetE0EEEvSM_,comdat
	.protected	_ZN7rocprim17ROCPRIM_400000_NS6detail17trampoline_kernelINS0_14default_configENS1_22reduce_config_selectorIfEEZNS1_11reduce_implILb1ES3_N6thrust23THRUST_200600_302600_NS11hip_rocprim26transform_input_iterator_tIfNS8_17counting_iteratorIiNS8_11use_defaultESC_SC_EE11estimate_piEEPffNS8_4plusIfEEEE10hipError_tPvRmT1_T2_T3_mT4_P12ihipStream_tbEUlT_E1_NS1_11comp_targetILNS1_3genE2ELNS1_11target_archE906ELNS1_3gpuE6ELNS1_3repE0EEENS1_30default_config_static_selectorELNS0_4arch9wavefront6targetE0EEEvSM_ ; -- Begin function _ZN7rocprim17ROCPRIM_400000_NS6detail17trampoline_kernelINS0_14default_configENS1_22reduce_config_selectorIfEEZNS1_11reduce_implILb1ES3_N6thrust23THRUST_200600_302600_NS11hip_rocprim26transform_input_iterator_tIfNS8_17counting_iteratorIiNS8_11use_defaultESC_SC_EE11estimate_piEEPffNS8_4plusIfEEEE10hipError_tPvRmT1_T2_T3_mT4_P12ihipStream_tbEUlT_E1_NS1_11comp_targetILNS1_3genE2ELNS1_11target_archE906ELNS1_3gpuE6ELNS1_3repE0EEENS1_30default_config_static_selectorELNS0_4arch9wavefront6targetE0EEEvSM_
	.globl	_ZN7rocprim17ROCPRIM_400000_NS6detail17trampoline_kernelINS0_14default_configENS1_22reduce_config_selectorIfEEZNS1_11reduce_implILb1ES3_N6thrust23THRUST_200600_302600_NS11hip_rocprim26transform_input_iterator_tIfNS8_17counting_iteratorIiNS8_11use_defaultESC_SC_EE11estimate_piEEPffNS8_4plusIfEEEE10hipError_tPvRmT1_T2_T3_mT4_P12ihipStream_tbEUlT_E1_NS1_11comp_targetILNS1_3genE2ELNS1_11target_archE906ELNS1_3gpuE6ELNS1_3repE0EEENS1_30default_config_static_selectorELNS0_4arch9wavefront6targetE0EEEvSM_
	.p2align	8
	.type	_ZN7rocprim17ROCPRIM_400000_NS6detail17trampoline_kernelINS0_14default_configENS1_22reduce_config_selectorIfEEZNS1_11reduce_implILb1ES3_N6thrust23THRUST_200600_302600_NS11hip_rocprim26transform_input_iterator_tIfNS8_17counting_iteratorIiNS8_11use_defaultESC_SC_EE11estimate_piEEPffNS8_4plusIfEEEE10hipError_tPvRmT1_T2_T3_mT4_P12ihipStream_tbEUlT_E1_NS1_11comp_targetILNS1_3genE2ELNS1_11target_archE906ELNS1_3gpuE6ELNS1_3repE0EEENS1_30default_config_static_selectorELNS0_4arch9wavefront6targetE0EEEvSM_,@function
_ZN7rocprim17ROCPRIM_400000_NS6detail17trampoline_kernelINS0_14default_configENS1_22reduce_config_selectorIfEEZNS1_11reduce_implILb1ES3_N6thrust23THRUST_200600_302600_NS11hip_rocprim26transform_input_iterator_tIfNS8_17counting_iteratorIiNS8_11use_defaultESC_SC_EE11estimate_piEEPffNS8_4plusIfEEEE10hipError_tPvRmT1_T2_T3_mT4_P12ihipStream_tbEUlT_E1_NS1_11comp_targetILNS1_3genE2ELNS1_11target_archE906ELNS1_3gpuE6ELNS1_3repE0EEENS1_30default_config_static_selectorELNS0_4arch9wavefront6targetE0EEEvSM_: ; @_ZN7rocprim17ROCPRIM_400000_NS6detail17trampoline_kernelINS0_14default_configENS1_22reduce_config_selectorIfEEZNS1_11reduce_implILb1ES3_N6thrust23THRUST_200600_302600_NS11hip_rocprim26transform_input_iterator_tIfNS8_17counting_iteratorIiNS8_11use_defaultESC_SC_EE11estimate_piEEPffNS8_4plusIfEEEE10hipError_tPvRmT1_T2_T3_mT4_P12ihipStream_tbEUlT_E1_NS1_11comp_targetILNS1_3genE2ELNS1_11target_archE906ELNS1_3gpuE6ELNS1_3repE0EEENS1_30default_config_static_selectorELNS0_4arch9wavefront6targetE0EEEvSM_
; %bb.0:
	.section	.rodata,"a",@progbits
	.p2align	6, 0x0
	.amdhsa_kernel _ZN7rocprim17ROCPRIM_400000_NS6detail17trampoline_kernelINS0_14default_configENS1_22reduce_config_selectorIfEEZNS1_11reduce_implILb1ES3_N6thrust23THRUST_200600_302600_NS11hip_rocprim26transform_input_iterator_tIfNS8_17counting_iteratorIiNS8_11use_defaultESC_SC_EE11estimate_piEEPffNS8_4plusIfEEEE10hipError_tPvRmT1_T2_T3_mT4_P12ihipStream_tbEUlT_E1_NS1_11comp_targetILNS1_3genE2ELNS1_11target_archE906ELNS1_3gpuE6ELNS1_3repE0EEENS1_30default_config_static_selectorELNS0_4arch9wavefront6targetE0EEEvSM_
		.amdhsa_group_segment_fixed_size 0
		.amdhsa_private_segment_fixed_size 0
		.amdhsa_kernarg_size 40
		.amdhsa_user_sgpr_count 2
		.amdhsa_user_sgpr_dispatch_ptr 0
		.amdhsa_user_sgpr_queue_ptr 0
		.amdhsa_user_sgpr_kernarg_segment_ptr 1
		.amdhsa_user_sgpr_dispatch_id 0
		.amdhsa_user_sgpr_kernarg_preload_length 0
		.amdhsa_user_sgpr_kernarg_preload_offset 0
		.amdhsa_user_sgpr_private_segment_size 0
		.amdhsa_wavefront_size32 1
		.amdhsa_uses_dynamic_stack 0
		.amdhsa_enable_private_segment 0
		.amdhsa_system_sgpr_workgroup_id_x 1
		.amdhsa_system_sgpr_workgroup_id_y 0
		.amdhsa_system_sgpr_workgroup_id_z 0
		.amdhsa_system_sgpr_workgroup_info 0
		.amdhsa_system_vgpr_workitem_id 0
		.amdhsa_next_free_vgpr 1
		.amdhsa_next_free_sgpr 1
		.amdhsa_named_barrier_count 0
		.amdhsa_reserve_vcc 0
		.amdhsa_float_round_mode_32 0
		.amdhsa_float_round_mode_16_64 0
		.amdhsa_float_denorm_mode_32 3
		.amdhsa_float_denorm_mode_16_64 3
		.amdhsa_fp16_overflow 0
		.amdhsa_memory_ordered 1
		.amdhsa_forward_progress 1
		.amdhsa_inst_pref_size 0
		.amdhsa_round_robin_scheduling 0
		.amdhsa_exception_fp_ieee_invalid_op 0
		.amdhsa_exception_fp_denorm_src 0
		.amdhsa_exception_fp_ieee_div_zero 0
		.amdhsa_exception_fp_ieee_overflow 0
		.amdhsa_exception_fp_ieee_underflow 0
		.amdhsa_exception_fp_ieee_inexact 0
		.amdhsa_exception_int_div_zero 0
	.end_amdhsa_kernel
	.section	.text._ZN7rocprim17ROCPRIM_400000_NS6detail17trampoline_kernelINS0_14default_configENS1_22reduce_config_selectorIfEEZNS1_11reduce_implILb1ES3_N6thrust23THRUST_200600_302600_NS11hip_rocprim26transform_input_iterator_tIfNS8_17counting_iteratorIiNS8_11use_defaultESC_SC_EE11estimate_piEEPffNS8_4plusIfEEEE10hipError_tPvRmT1_T2_T3_mT4_P12ihipStream_tbEUlT_E1_NS1_11comp_targetILNS1_3genE2ELNS1_11target_archE906ELNS1_3gpuE6ELNS1_3repE0EEENS1_30default_config_static_selectorELNS0_4arch9wavefront6targetE0EEEvSM_,"axG",@progbits,_ZN7rocprim17ROCPRIM_400000_NS6detail17trampoline_kernelINS0_14default_configENS1_22reduce_config_selectorIfEEZNS1_11reduce_implILb1ES3_N6thrust23THRUST_200600_302600_NS11hip_rocprim26transform_input_iterator_tIfNS8_17counting_iteratorIiNS8_11use_defaultESC_SC_EE11estimate_piEEPffNS8_4plusIfEEEE10hipError_tPvRmT1_T2_T3_mT4_P12ihipStream_tbEUlT_E1_NS1_11comp_targetILNS1_3genE2ELNS1_11target_archE906ELNS1_3gpuE6ELNS1_3repE0EEENS1_30default_config_static_selectorELNS0_4arch9wavefront6targetE0EEEvSM_,comdat
.Lfunc_end31:
	.size	_ZN7rocprim17ROCPRIM_400000_NS6detail17trampoline_kernelINS0_14default_configENS1_22reduce_config_selectorIfEEZNS1_11reduce_implILb1ES3_N6thrust23THRUST_200600_302600_NS11hip_rocprim26transform_input_iterator_tIfNS8_17counting_iteratorIiNS8_11use_defaultESC_SC_EE11estimate_piEEPffNS8_4plusIfEEEE10hipError_tPvRmT1_T2_T3_mT4_P12ihipStream_tbEUlT_E1_NS1_11comp_targetILNS1_3genE2ELNS1_11target_archE906ELNS1_3gpuE6ELNS1_3repE0EEENS1_30default_config_static_selectorELNS0_4arch9wavefront6targetE0EEEvSM_, .Lfunc_end31-_ZN7rocprim17ROCPRIM_400000_NS6detail17trampoline_kernelINS0_14default_configENS1_22reduce_config_selectorIfEEZNS1_11reduce_implILb1ES3_N6thrust23THRUST_200600_302600_NS11hip_rocprim26transform_input_iterator_tIfNS8_17counting_iteratorIiNS8_11use_defaultESC_SC_EE11estimate_piEEPffNS8_4plusIfEEEE10hipError_tPvRmT1_T2_T3_mT4_P12ihipStream_tbEUlT_E1_NS1_11comp_targetILNS1_3genE2ELNS1_11target_archE906ELNS1_3gpuE6ELNS1_3repE0EEENS1_30default_config_static_selectorELNS0_4arch9wavefront6targetE0EEEvSM_
                                        ; -- End function
	.set _ZN7rocprim17ROCPRIM_400000_NS6detail17trampoline_kernelINS0_14default_configENS1_22reduce_config_selectorIfEEZNS1_11reduce_implILb1ES3_N6thrust23THRUST_200600_302600_NS11hip_rocprim26transform_input_iterator_tIfNS8_17counting_iteratorIiNS8_11use_defaultESC_SC_EE11estimate_piEEPffNS8_4plusIfEEEE10hipError_tPvRmT1_T2_T3_mT4_P12ihipStream_tbEUlT_E1_NS1_11comp_targetILNS1_3genE2ELNS1_11target_archE906ELNS1_3gpuE6ELNS1_3repE0EEENS1_30default_config_static_selectorELNS0_4arch9wavefront6targetE0EEEvSM_.num_vgpr, 0
	.set _ZN7rocprim17ROCPRIM_400000_NS6detail17trampoline_kernelINS0_14default_configENS1_22reduce_config_selectorIfEEZNS1_11reduce_implILb1ES3_N6thrust23THRUST_200600_302600_NS11hip_rocprim26transform_input_iterator_tIfNS8_17counting_iteratorIiNS8_11use_defaultESC_SC_EE11estimate_piEEPffNS8_4plusIfEEEE10hipError_tPvRmT1_T2_T3_mT4_P12ihipStream_tbEUlT_E1_NS1_11comp_targetILNS1_3genE2ELNS1_11target_archE906ELNS1_3gpuE6ELNS1_3repE0EEENS1_30default_config_static_selectorELNS0_4arch9wavefront6targetE0EEEvSM_.num_agpr, 0
	.set _ZN7rocprim17ROCPRIM_400000_NS6detail17trampoline_kernelINS0_14default_configENS1_22reduce_config_selectorIfEEZNS1_11reduce_implILb1ES3_N6thrust23THRUST_200600_302600_NS11hip_rocprim26transform_input_iterator_tIfNS8_17counting_iteratorIiNS8_11use_defaultESC_SC_EE11estimate_piEEPffNS8_4plusIfEEEE10hipError_tPvRmT1_T2_T3_mT4_P12ihipStream_tbEUlT_E1_NS1_11comp_targetILNS1_3genE2ELNS1_11target_archE906ELNS1_3gpuE6ELNS1_3repE0EEENS1_30default_config_static_selectorELNS0_4arch9wavefront6targetE0EEEvSM_.numbered_sgpr, 0
	.set _ZN7rocprim17ROCPRIM_400000_NS6detail17trampoline_kernelINS0_14default_configENS1_22reduce_config_selectorIfEEZNS1_11reduce_implILb1ES3_N6thrust23THRUST_200600_302600_NS11hip_rocprim26transform_input_iterator_tIfNS8_17counting_iteratorIiNS8_11use_defaultESC_SC_EE11estimate_piEEPffNS8_4plusIfEEEE10hipError_tPvRmT1_T2_T3_mT4_P12ihipStream_tbEUlT_E1_NS1_11comp_targetILNS1_3genE2ELNS1_11target_archE906ELNS1_3gpuE6ELNS1_3repE0EEENS1_30default_config_static_selectorELNS0_4arch9wavefront6targetE0EEEvSM_.num_named_barrier, 0
	.set _ZN7rocprim17ROCPRIM_400000_NS6detail17trampoline_kernelINS0_14default_configENS1_22reduce_config_selectorIfEEZNS1_11reduce_implILb1ES3_N6thrust23THRUST_200600_302600_NS11hip_rocprim26transform_input_iterator_tIfNS8_17counting_iteratorIiNS8_11use_defaultESC_SC_EE11estimate_piEEPffNS8_4plusIfEEEE10hipError_tPvRmT1_T2_T3_mT4_P12ihipStream_tbEUlT_E1_NS1_11comp_targetILNS1_3genE2ELNS1_11target_archE906ELNS1_3gpuE6ELNS1_3repE0EEENS1_30default_config_static_selectorELNS0_4arch9wavefront6targetE0EEEvSM_.private_seg_size, 0
	.set _ZN7rocprim17ROCPRIM_400000_NS6detail17trampoline_kernelINS0_14default_configENS1_22reduce_config_selectorIfEEZNS1_11reduce_implILb1ES3_N6thrust23THRUST_200600_302600_NS11hip_rocprim26transform_input_iterator_tIfNS8_17counting_iteratorIiNS8_11use_defaultESC_SC_EE11estimate_piEEPffNS8_4plusIfEEEE10hipError_tPvRmT1_T2_T3_mT4_P12ihipStream_tbEUlT_E1_NS1_11comp_targetILNS1_3genE2ELNS1_11target_archE906ELNS1_3gpuE6ELNS1_3repE0EEENS1_30default_config_static_selectorELNS0_4arch9wavefront6targetE0EEEvSM_.uses_vcc, 0
	.set _ZN7rocprim17ROCPRIM_400000_NS6detail17trampoline_kernelINS0_14default_configENS1_22reduce_config_selectorIfEEZNS1_11reduce_implILb1ES3_N6thrust23THRUST_200600_302600_NS11hip_rocprim26transform_input_iterator_tIfNS8_17counting_iteratorIiNS8_11use_defaultESC_SC_EE11estimate_piEEPffNS8_4plusIfEEEE10hipError_tPvRmT1_T2_T3_mT4_P12ihipStream_tbEUlT_E1_NS1_11comp_targetILNS1_3genE2ELNS1_11target_archE906ELNS1_3gpuE6ELNS1_3repE0EEENS1_30default_config_static_selectorELNS0_4arch9wavefront6targetE0EEEvSM_.uses_flat_scratch, 0
	.set _ZN7rocprim17ROCPRIM_400000_NS6detail17trampoline_kernelINS0_14default_configENS1_22reduce_config_selectorIfEEZNS1_11reduce_implILb1ES3_N6thrust23THRUST_200600_302600_NS11hip_rocprim26transform_input_iterator_tIfNS8_17counting_iteratorIiNS8_11use_defaultESC_SC_EE11estimate_piEEPffNS8_4plusIfEEEE10hipError_tPvRmT1_T2_T3_mT4_P12ihipStream_tbEUlT_E1_NS1_11comp_targetILNS1_3genE2ELNS1_11target_archE906ELNS1_3gpuE6ELNS1_3repE0EEENS1_30default_config_static_selectorELNS0_4arch9wavefront6targetE0EEEvSM_.has_dyn_sized_stack, 0
	.set _ZN7rocprim17ROCPRIM_400000_NS6detail17trampoline_kernelINS0_14default_configENS1_22reduce_config_selectorIfEEZNS1_11reduce_implILb1ES3_N6thrust23THRUST_200600_302600_NS11hip_rocprim26transform_input_iterator_tIfNS8_17counting_iteratorIiNS8_11use_defaultESC_SC_EE11estimate_piEEPffNS8_4plusIfEEEE10hipError_tPvRmT1_T2_T3_mT4_P12ihipStream_tbEUlT_E1_NS1_11comp_targetILNS1_3genE2ELNS1_11target_archE906ELNS1_3gpuE6ELNS1_3repE0EEENS1_30default_config_static_selectorELNS0_4arch9wavefront6targetE0EEEvSM_.has_recursion, 0
	.set _ZN7rocprim17ROCPRIM_400000_NS6detail17trampoline_kernelINS0_14default_configENS1_22reduce_config_selectorIfEEZNS1_11reduce_implILb1ES3_N6thrust23THRUST_200600_302600_NS11hip_rocprim26transform_input_iterator_tIfNS8_17counting_iteratorIiNS8_11use_defaultESC_SC_EE11estimate_piEEPffNS8_4plusIfEEEE10hipError_tPvRmT1_T2_T3_mT4_P12ihipStream_tbEUlT_E1_NS1_11comp_targetILNS1_3genE2ELNS1_11target_archE906ELNS1_3gpuE6ELNS1_3repE0EEENS1_30default_config_static_selectorELNS0_4arch9wavefront6targetE0EEEvSM_.has_indirect_call, 0
	.section	.AMDGPU.csdata,"",@progbits
; Kernel info:
; codeLenInByte = 0
; TotalNumSgprs: 0
; NumVgprs: 0
; ScratchSize: 0
; MemoryBound: 0
; FloatMode: 240
; IeeeMode: 1
; LDSByteSize: 0 bytes/workgroup (compile time only)
; SGPRBlocks: 0
; VGPRBlocks: 0
; NumSGPRsForWavesPerEU: 1
; NumVGPRsForWavesPerEU: 1
; NamedBarCnt: 0
; Occupancy: 16
; WaveLimiterHint : 0
; COMPUTE_PGM_RSRC2:SCRATCH_EN: 0
; COMPUTE_PGM_RSRC2:USER_SGPR: 2
; COMPUTE_PGM_RSRC2:TRAP_HANDLER: 0
; COMPUTE_PGM_RSRC2:TGID_X_EN: 1
; COMPUTE_PGM_RSRC2:TGID_Y_EN: 0
; COMPUTE_PGM_RSRC2:TGID_Z_EN: 0
; COMPUTE_PGM_RSRC2:TIDIG_COMP_CNT: 0
	.section	.text._ZN7rocprim17ROCPRIM_400000_NS6detail17trampoline_kernelINS0_14default_configENS1_22reduce_config_selectorIfEEZNS1_11reduce_implILb1ES3_N6thrust23THRUST_200600_302600_NS11hip_rocprim26transform_input_iterator_tIfNS8_17counting_iteratorIiNS8_11use_defaultESC_SC_EE11estimate_piEEPffNS8_4plusIfEEEE10hipError_tPvRmT1_T2_T3_mT4_P12ihipStream_tbEUlT_E1_NS1_11comp_targetILNS1_3genE10ELNS1_11target_archE1201ELNS1_3gpuE5ELNS1_3repE0EEENS1_30default_config_static_selectorELNS0_4arch9wavefront6targetE0EEEvSM_,"axG",@progbits,_ZN7rocprim17ROCPRIM_400000_NS6detail17trampoline_kernelINS0_14default_configENS1_22reduce_config_selectorIfEEZNS1_11reduce_implILb1ES3_N6thrust23THRUST_200600_302600_NS11hip_rocprim26transform_input_iterator_tIfNS8_17counting_iteratorIiNS8_11use_defaultESC_SC_EE11estimate_piEEPffNS8_4plusIfEEEE10hipError_tPvRmT1_T2_T3_mT4_P12ihipStream_tbEUlT_E1_NS1_11comp_targetILNS1_3genE10ELNS1_11target_archE1201ELNS1_3gpuE5ELNS1_3repE0EEENS1_30default_config_static_selectorELNS0_4arch9wavefront6targetE0EEEvSM_,comdat
	.protected	_ZN7rocprim17ROCPRIM_400000_NS6detail17trampoline_kernelINS0_14default_configENS1_22reduce_config_selectorIfEEZNS1_11reduce_implILb1ES3_N6thrust23THRUST_200600_302600_NS11hip_rocprim26transform_input_iterator_tIfNS8_17counting_iteratorIiNS8_11use_defaultESC_SC_EE11estimate_piEEPffNS8_4plusIfEEEE10hipError_tPvRmT1_T2_T3_mT4_P12ihipStream_tbEUlT_E1_NS1_11comp_targetILNS1_3genE10ELNS1_11target_archE1201ELNS1_3gpuE5ELNS1_3repE0EEENS1_30default_config_static_selectorELNS0_4arch9wavefront6targetE0EEEvSM_ ; -- Begin function _ZN7rocprim17ROCPRIM_400000_NS6detail17trampoline_kernelINS0_14default_configENS1_22reduce_config_selectorIfEEZNS1_11reduce_implILb1ES3_N6thrust23THRUST_200600_302600_NS11hip_rocprim26transform_input_iterator_tIfNS8_17counting_iteratorIiNS8_11use_defaultESC_SC_EE11estimate_piEEPffNS8_4plusIfEEEE10hipError_tPvRmT1_T2_T3_mT4_P12ihipStream_tbEUlT_E1_NS1_11comp_targetILNS1_3genE10ELNS1_11target_archE1201ELNS1_3gpuE5ELNS1_3repE0EEENS1_30default_config_static_selectorELNS0_4arch9wavefront6targetE0EEEvSM_
	.globl	_ZN7rocprim17ROCPRIM_400000_NS6detail17trampoline_kernelINS0_14default_configENS1_22reduce_config_selectorIfEEZNS1_11reduce_implILb1ES3_N6thrust23THRUST_200600_302600_NS11hip_rocprim26transform_input_iterator_tIfNS8_17counting_iteratorIiNS8_11use_defaultESC_SC_EE11estimate_piEEPffNS8_4plusIfEEEE10hipError_tPvRmT1_T2_T3_mT4_P12ihipStream_tbEUlT_E1_NS1_11comp_targetILNS1_3genE10ELNS1_11target_archE1201ELNS1_3gpuE5ELNS1_3repE0EEENS1_30default_config_static_selectorELNS0_4arch9wavefront6targetE0EEEvSM_
	.p2align	8
	.type	_ZN7rocprim17ROCPRIM_400000_NS6detail17trampoline_kernelINS0_14default_configENS1_22reduce_config_selectorIfEEZNS1_11reduce_implILb1ES3_N6thrust23THRUST_200600_302600_NS11hip_rocprim26transform_input_iterator_tIfNS8_17counting_iteratorIiNS8_11use_defaultESC_SC_EE11estimate_piEEPffNS8_4plusIfEEEE10hipError_tPvRmT1_T2_T3_mT4_P12ihipStream_tbEUlT_E1_NS1_11comp_targetILNS1_3genE10ELNS1_11target_archE1201ELNS1_3gpuE5ELNS1_3repE0EEENS1_30default_config_static_selectorELNS0_4arch9wavefront6targetE0EEEvSM_,@function
_ZN7rocprim17ROCPRIM_400000_NS6detail17trampoline_kernelINS0_14default_configENS1_22reduce_config_selectorIfEEZNS1_11reduce_implILb1ES3_N6thrust23THRUST_200600_302600_NS11hip_rocprim26transform_input_iterator_tIfNS8_17counting_iteratorIiNS8_11use_defaultESC_SC_EE11estimate_piEEPffNS8_4plusIfEEEE10hipError_tPvRmT1_T2_T3_mT4_P12ihipStream_tbEUlT_E1_NS1_11comp_targetILNS1_3genE10ELNS1_11target_archE1201ELNS1_3gpuE5ELNS1_3repE0EEENS1_30default_config_static_selectorELNS0_4arch9wavefront6targetE0EEEvSM_: ; @_ZN7rocprim17ROCPRIM_400000_NS6detail17trampoline_kernelINS0_14default_configENS1_22reduce_config_selectorIfEEZNS1_11reduce_implILb1ES3_N6thrust23THRUST_200600_302600_NS11hip_rocprim26transform_input_iterator_tIfNS8_17counting_iteratorIiNS8_11use_defaultESC_SC_EE11estimate_piEEPffNS8_4plusIfEEEE10hipError_tPvRmT1_T2_T3_mT4_P12ihipStream_tbEUlT_E1_NS1_11comp_targetILNS1_3genE10ELNS1_11target_archE1201ELNS1_3gpuE5ELNS1_3repE0EEENS1_30default_config_static_selectorELNS0_4arch9wavefront6targetE0EEEvSM_
; %bb.0:
	.section	.rodata,"a",@progbits
	.p2align	6, 0x0
	.amdhsa_kernel _ZN7rocprim17ROCPRIM_400000_NS6detail17trampoline_kernelINS0_14default_configENS1_22reduce_config_selectorIfEEZNS1_11reduce_implILb1ES3_N6thrust23THRUST_200600_302600_NS11hip_rocprim26transform_input_iterator_tIfNS8_17counting_iteratorIiNS8_11use_defaultESC_SC_EE11estimate_piEEPffNS8_4plusIfEEEE10hipError_tPvRmT1_T2_T3_mT4_P12ihipStream_tbEUlT_E1_NS1_11comp_targetILNS1_3genE10ELNS1_11target_archE1201ELNS1_3gpuE5ELNS1_3repE0EEENS1_30default_config_static_selectorELNS0_4arch9wavefront6targetE0EEEvSM_
		.amdhsa_group_segment_fixed_size 0
		.amdhsa_private_segment_fixed_size 0
		.amdhsa_kernarg_size 40
		.amdhsa_user_sgpr_count 2
		.amdhsa_user_sgpr_dispatch_ptr 0
		.amdhsa_user_sgpr_queue_ptr 0
		.amdhsa_user_sgpr_kernarg_segment_ptr 1
		.amdhsa_user_sgpr_dispatch_id 0
		.amdhsa_user_sgpr_kernarg_preload_length 0
		.amdhsa_user_sgpr_kernarg_preload_offset 0
		.amdhsa_user_sgpr_private_segment_size 0
		.amdhsa_wavefront_size32 1
		.amdhsa_uses_dynamic_stack 0
		.amdhsa_enable_private_segment 0
		.amdhsa_system_sgpr_workgroup_id_x 1
		.amdhsa_system_sgpr_workgroup_id_y 0
		.amdhsa_system_sgpr_workgroup_id_z 0
		.amdhsa_system_sgpr_workgroup_info 0
		.amdhsa_system_vgpr_workitem_id 0
		.amdhsa_next_free_vgpr 1
		.amdhsa_next_free_sgpr 1
		.amdhsa_named_barrier_count 0
		.amdhsa_reserve_vcc 0
		.amdhsa_float_round_mode_32 0
		.amdhsa_float_round_mode_16_64 0
		.amdhsa_float_denorm_mode_32 3
		.amdhsa_float_denorm_mode_16_64 3
		.amdhsa_fp16_overflow 0
		.amdhsa_memory_ordered 1
		.amdhsa_forward_progress 1
		.amdhsa_inst_pref_size 0
		.amdhsa_round_robin_scheduling 0
		.amdhsa_exception_fp_ieee_invalid_op 0
		.amdhsa_exception_fp_denorm_src 0
		.amdhsa_exception_fp_ieee_div_zero 0
		.amdhsa_exception_fp_ieee_overflow 0
		.amdhsa_exception_fp_ieee_underflow 0
		.amdhsa_exception_fp_ieee_inexact 0
		.amdhsa_exception_int_div_zero 0
	.end_amdhsa_kernel
	.section	.text._ZN7rocprim17ROCPRIM_400000_NS6detail17trampoline_kernelINS0_14default_configENS1_22reduce_config_selectorIfEEZNS1_11reduce_implILb1ES3_N6thrust23THRUST_200600_302600_NS11hip_rocprim26transform_input_iterator_tIfNS8_17counting_iteratorIiNS8_11use_defaultESC_SC_EE11estimate_piEEPffNS8_4plusIfEEEE10hipError_tPvRmT1_T2_T3_mT4_P12ihipStream_tbEUlT_E1_NS1_11comp_targetILNS1_3genE10ELNS1_11target_archE1201ELNS1_3gpuE5ELNS1_3repE0EEENS1_30default_config_static_selectorELNS0_4arch9wavefront6targetE0EEEvSM_,"axG",@progbits,_ZN7rocprim17ROCPRIM_400000_NS6detail17trampoline_kernelINS0_14default_configENS1_22reduce_config_selectorIfEEZNS1_11reduce_implILb1ES3_N6thrust23THRUST_200600_302600_NS11hip_rocprim26transform_input_iterator_tIfNS8_17counting_iteratorIiNS8_11use_defaultESC_SC_EE11estimate_piEEPffNS8_4plusIfEEEE10hipError_tPvRmT1_T2_T3_mT4_P12ihipStream_tbEUlT_E1_NS1_11comp_targetILNS1_3genE10ELNS1_11target_archE1201ELNS1_3gpuE5ELNS1_3repE0EEENS1_30default_config_static_selectorELNS0_4arch9wavefront6targetE0EEEvSM_,comdat
.Lfunc_end32:
	.size	_ZN7rocprim17ROCPRIM_400000_NS6detail17trampoline_kernelINS0_14default_configENS1_22reduce_config_selectorIfEEZNS1_11reduce_implILb1ES3_N6thrust23THRUST_200600_302600_NS11hip_rocprim26transform_input_iterator_tIfNS8_17counting_iteratorIiNS8_11use_defaultESC_SC_EE11estimate_piEEPffNS8_4plusIfEEEE10hipError_tPvRmT1_T2_T3_mT4_P12ihipStream_tbEUlT_E1_NS1_11comp_targetILNS1_3genE10ELNS1_11target_archE1201ELNS1_3gpuE5ELNS1_3repE0EEENS1_30default_config_static_selectorELNS0_4arch9wavefront6targetE0EEEvSM_, .Lfunc_end32-_ZN7rocprim17ROCPRIM_400000_NS6detail17trampoline_kernelINS0_14default_configENS1_22reduce_config_selectorIfEEZNS1_11reduce_implILb1ES3_N6thrust23THRUST_200600_302600_NS11hip_rocprim26transform_input_iterator_tIfNS8_17counting_iteratorIiNS8_11use_defaultESC_SC_EE11estimate_piEEPffNS8_4plusIfEEEE10hipError_tPvRmT1_T2_T3_mT4_P12ihipStream_tbEUlT_E1_NS1_11comp_targetILNS1_3genE10ELNS1_11target_archE1201ELNS1_3gpuE5ELNS1_3repE0EEENS1_30default_config_static_selectorELNS0_4arch9wavefront6targetE0EEEvSM_
                                        ; -- End function
	.set _ZN7rocprim17ROCPRIM_400000_NS6detail17trampoline_kernelINS0_14default_configENS1_22reduce_config_selectorIfEEZNS1_11reduce_implILb1ES3_N6thrust23THRUST_200600_302600_NS11hip_rocprim26transform_input_iterator_tIfNS8_17counting_iteratorIiNS8_11use_defaultESC_SC_EE11estimate_piEEPffNS8_4plusIfEEEE10hipError_tPvRmT1_T2_T3_mT4_P12ihipStream_tbEUlT_E1_NS1_11comp_targetILNS1_3genE10ELNS1_11target_archE1201ELNS1_3gpuE5ELNS1_3repE0EEENS1_30default_config_static_selectorELNS0_4arch9wavefront6targetE0EEEvSM_.num_vgpr, 0
	.set _ZN7rocprim17ROCPRIM_400000_NS6detail17trampoline_kernelINS0_14default_configENS1_22reduce_config_selectorIfEEZNS1_11reduce_implILb1ES3_N6thrust23THRUST_200600_302600_NS11hip_rocprim26transform_input_iterator_tIfNS8_17counting_iteratorIiNS8_11use_defaultESC_SC_EE11estimate_piEEPffNS8_4plusIfEEEE10hipError_tPvRmT1_T2_T3_mT4_P12ihipStream_tbEUlT_E1_NS1_11comp_targetILNS1_3genE10ELNS1_11target_archE1201ELNS1_3gpuE5ELNS1_3repE0EEENS1_30default_config_static_selectorELNS0_4arch9wavefront6targetE0EEEvSM_.num_agpr, 0
	.set _ZN7rocprim17ROCPRIM_400000_NS6detail17trampoline_kernelINS0_14default_configENS1_22reduce_config_selectorIfEEZNS1_11reduce_implILb1ES3_N6thrust23THRUST_200600_302600_NS11hip_rocprim26transform_input_iterator_tIfNS8_17counting_iteratorIiNS8_11use_defaultESC_SC_EE11estimate_piEEPffNS8_4plusIfEEEE10hipError_tPvRmT1_T2_T3_mT4_P12ihipStream_tbEUlT_E1_NS1_11comp_targetILNS1_3genE10ELNS1_11target_archE1201ELNS1_3gpuE5ELNS1_3repE0EEENS1_30default_config_static_selectorELNS0_4arch9wavefront6targetE0EEEvSM_.numbered_sgpr, 0
	.set _ZN7rocprim17ROCPRIM_400000_NS6detail17trampoline_kernelINS0_14default_configENS1_22reduce_config_selectorIfEEZNS1_11reduce_implILb1ES3_N6thrust23THRUST_200600_302600_NS11hip_rocprim26transform_input_iterator_tIfNS8_17counting_iteratorIiNS8_11use_defaultESC_SC_EE11estimate_piEEPffNS8_4plusIfEEEE10hipError_tPvRmT1_T2_T3_mT4_P12ihipStream_tbEUlT_E1_NS1_11comp_targetILNS1_3genE10ELNS1_11target_archE1201ELNS1_3gpuE5ELNS1_3repE0EEENS1_30default_config_static_selectorELNS0_4arch9wavefront6targetE0EEEvSM_.num_named_barrier, 0
	.set _ZN7rocprim17ROCPRIM_400000_NS6detail17trampoline_kernelINS0_14default_configENS1_22reduce_config_selectorIfEEZNS1_11reduce_implILb1ES3_N6thrust23THRUST_200600_302600_NS11hip_rocprim26transform_input_iterator_tIfNS8_17counting_iteratorIiNS8_11use_defaultESC_SC_EE11estimate_piEEPffNS8_4plusIfEEEE10hipError_tPvRmT1_T2_T3_mT4_P12ihipStream_tbEUlT_E1_NS1_11comp_targetILNS1_3genE10ELNS1_11target_archE1201ELNS1_3gpuE5ELNS1_3repE0EEENS1_30default_config_static_selectorELNS0_4arch9wavefront6targetE0EEEvSM_.private_seg_size, 0
	.set _ZN7rocprim17ROCPRIM_400000_NS6detail17trampoline_kernelINS0_14default_configENS1_22reduce_config_selectorIfEEZNS1_11reduce_implILb1ES3_N6thrust23THRUST_200600_302600_NS11hip_rocprim26transform_input_iterator_tIfNS8_17counting_iteratorIiNS8_11use_defaultESC_SC_EE11estimate_piEEPffNS8_4plusIfEEEE10hipError_tPvRmT1_T2_T3_mT4_P12ihipStream_tbEUlT_E1_NS1_11comp_targetILNS1_3genE10ELNS1_11target_archE1201ELNS1_3gpuE5ELNS1_3repE0EEENS1_30default_config_static_selectorELNS0_4arch9wavefront6targetE0EEEvSM_.uses_vcc, 0
	.set _ZN7rocprim17ROCPRIM_400000_NS6detail17trampoline_kernelINS0_14default_configENS1_22reduce_config_selectorIfEEZNS1_11reduce_implILb1ES3_N6thrust23THRUST_200600_302600_NS11hip_rocprim26transform_input_iterator_tIfNS8_17counting_iteratorIiNS8_11use_defaultESC_SC_EE11estimate_piEEPffNS8_4plusIfEEEE10hipError_tPvRmT1_T2_T3_mT4_P12ihipStream_tbEUlT_E1_NS1_11comp_targetILNS1_3genE10ELNS1_11target_archE1201ELNS1_3gpuE5ELNS1_3repE0EEENS1_30default_config_static_selectorELNS0_4arch9wavefront6targetE0EEEvSM_.uses_flat_scratch, 0
	.set _ZN7rocprim17ROCPRIM_400000_NS6detail17trampoline_kernelINS0_14default_configENS1_22reduce_config_selectorIfEEZNS1_11reduce_implILb1ES3_N6thrust23THRUST_200600_302600_NS11hip_rocprim26transform_input_iterator_tIfNS8_17counting_iteratorIiNS8_11use_defaultESC_SC_EE11estimate_piEEPffNS8_4plusIfEEEE10hipError_tPvRmT1_T2_T3_mT4_P12ihipStream_tbEUlT_E1_NS1_11comp_targetILNS1_3genE10ELNS1_11target_archE1201ELNS1_3gpuE5ELNS1_3repE0EEENS1_30default_config_static_selectorELNS0_4arch9wavefront6targetE0EEEvSM_.has_dyn_sized_stack, 0
	.set _ZN7rocprim17ROCPRIM_400000_NS6detail17trampoline_kernelINS0_14default_configENS1_22reduce_config_selectorIfEEZNS1_11reduce_implILb1ES3_N6thrust23THRUST_200600_302600_NS11hip_rocprim26transform_input_iterator_tIfNS8_17counting_iteratorIiNS8_11use_defaultESC_SC_EE11estimate_piEEPffNS8_4plusIfEEEE10hipError_tPvRmT1_T2_T3_mT4_P12ihipStream_tbEUlT_E1_NS1_11comp_targetILNS1_3genE10ELNS1_11target_archE1201ELNS1_3gpuE5ELNS1_3repE0EEENS1_30default_config_static_selectorELNS0_4arch9wavefront6targetE0EEEvSM_.has_recursion, 0
	.set _ZN7rocprim17ROCPRIM_400000_NS6detail17trampoline_kernelINS0_14default_configENS1_22reduce_config_selectorIfEEZNS1_11reduce_implILb1ES3_N6thrust23THRUST_200600_302600_NS11hip_rocprim26transform_input_iterator_tIfNS8_17counting_iteratorIiNS8_11use_defaultESC_SC_EE11estimate_piEEPffNS8_4plusIfEEEE10hipError_tPvRmT1_T2_T3_mT4_P12ihipStream_tbEUlT_E1_NS1_11comp_targetILNS1_3genE10ELNS1_11target_archE1201ELNS1_3gpuE5ELNS1_3repE0EEENS1_30default_config_static_selectorELNS0_4arch9wavefront6targetE0EEEvSM_.has_indirect_call, 0
	.section	.AMDGPU.csdata,"",@progbits
; Kernel info:
; codeLenInByte = 0
; TotalNumSgprs: 0
; NumVgprs: 0
; ScratchSize: 0
; MemoryBound: 0
; FloatMode: 240
; IeeeMode: 1
; LDSByteSize: 0 bytes/workgroup (compile time only)
; SGPRBlocks: 0
; VGPRBlocks: 0
; NumSGPRsForWavesPerEU: 1
; NumVGPRsForWavesPerEU: 1
; NamedBarCnt: 0
; Occupancy: 16
; WaveLimiterHint : 0
; COMPUTE_PGM_RSRC2:SCRATCH_EN: 0
; COMPUTE_PGM_RSRC2:USER_SGPR: 2
; COMPUTE_PGM_RSRC2:TRAP_HANDLER: 0
; COMPUTE_PGM_RSRC2:TGID_X_EN: 1
; COMPUTE_PGM_RSRC2:TGID_Y_EN: 0
; COMPUTE_PGM_RSRC2:TGID_Z_EN: 0
; COMPUTE_PGM_RSRC2:TIDIG_COMP_CNT: 0
	.section	.text._ZN7rocprim17ROCPRIM_400000_NS6detail17trampoline_kernelINS0_14default_configENS1_22reduce_config_selectorIfEEZNS1_11reduce_implILb1ES3_N6thrust23THRUST_200600_302600_NS11hip_rocprim26transform_input_iterator_tIfNS8_17counting_iteratorIiNS8_11use_defaultESC_SC_EE11estimate_piEEPffNS8_4plusIfEEEE10hipError_tPvRmT1_T2_T3_mT4_P12ihipStream_tbEUlT_E1_NS1_11comp_targetILNS1_3genE10ELNS1_11target_archE1200ELNS1_3gpuE4ELNS1_3repE0EEENS1_30default_config_static_selectorELNS0_4arch9wavefront6targetE0EEEvSM_,"axG",@progbits,_ZN7rocprim17ROCPRIM_400000_NS6detail17trampoline_kernelINS0_14default_configENS1_22reduce_config_selectorIfEEZNS1_11reduce_implILb1ES3_N6thrust23THRUST_200600_302600_NS11hip_rocprim26transform_input_iterator_tIfNS8_17counting_iteratorIiNS8_11use_defaultESC_SC_EE11estimate_piEEPffNS8_4plusIfEEEE10hipError_tPvRmT1_T2_T3_mT4_P12ihipStream_tbEUlT_E1_NS1_11comp_targetILNS1_3genE10ELNS1_11target_archE1200ELNS1_3gpuE4ELNS1_3repE0EEENS1_30default_config_static_selectorELNS0_4arch9wavefront6targetE0EEEvSM_,comdat
	.protected	_ZN7rocprim17ROCPRIM_400000_NS6detail17trampoline_kernelINS0_14default_configENS1_22reduce_config_selectorIfEEZNS1_11reduce_implILb1ES3_N6thrust23THRUST_200600_302600_NS11hip_rocprim26transform_input_iterator_tIfNS8_17counting_iteratorIiNS8_11use_defaultESC_SC_EE11estimate_piEEPffNS8_4plusIfEEEE10hipError_tPvRmT1_T2_T3_mT4_P12ihipStream_tbEUlT_E1_NS1_11comp_targetILNS1_3genE10ELNS1_11target_archE1200ELNS1_3gpuE4ELNS1_3repE0EEENS1_30default_config_static_selectorELNS0_4arch9wavefront6targetE0EEEvSM_ ; -- Begin function _ZN7rocprim17ROCPRIM_400000_NS6detail17trampoline_kernelINS0_14default_configENS1_22reduce_config_selectorIfEEZNS1_11reduce_implILb1ES3_N6thrust23THRUST_200600_302600_NS11hip_rocprim26transform_input_iterator_tIfNS8_17counting_iteratorIiNS8_11use_defaultESC_SC_EE11estimate_piEEPffNS8_4plusIfEEEE10hipError_tPvRmT1_T2_T3_mT4_P12ihipStream_tbEUlT_E1_NS1_11comp_targetILNS1_3genE10ELNS1_11target_archE1200ELNS1_3gpuE4ELNS1_3repE0EEENS1_30default_config_static_selectorELNS0_4arch9wavefront6targetE0EEEvSM_
	.globl	_ZN7rocprim17ROCPRIM_400000_NS6detail17trampoline_kernelINS0_14default_configENS1_22reduce_config_selectorIfEEZNS1_11reduce_implILb1ES3_N6thrust23THRUST_200600_302600_NS11hip_rocprim26transform_input_iterator_tIfNS8_17counting_iteratorIiNS8_11use_defaultESC_SC_EE11estimate_piEEPffNS8_4plusIfEEEE10hipError_tPvRmT1_T2_T3_mT4_P12ihipStream_tbEUlT_E1_NS1_11comp_targetILNS1_3genE10ELNS1_11target_archE1200ELNS1_3gpuE4ELNS1_3repE0EEENS1_30default_config_static_selectorELNS0_4arch9wavefront6targetE0EEEvSM_
	.p2align	8
	.type	_ZN7rocprim17ROCPRIM_400000_NS6detail17trampoline_kernelINS0_14default_configENS1_22reduce_config_selectorIfEEZNS1_11reduce_implILb1ES3_N6thrust23THRUST_200600_302600_NS11hip_rocprim26transform_input_iterator_tIfNS8_17counting_iteratorIiNS8_11use_defaultESC_SC_EE11estimate_piEEPffNS8_4plusIfEEEE10hipError_tPvRmT1_T2_T3_mT4_P12ihipStream_tbEUlT_E1_NS1_11comp_targetILNS1_3genE10ELNS1_11target_archE1200ELNS1_3gpuE4ELNS1_3repE0EEENS1_30default_config_static_selectorELNS0_4arch9wavefront6targetE0EEEvSM_,@function
_ZN7rocprim17ROCPRIM_400000_NS6detail17trampoline_kernelINS0_14default_configENS1_22reduce_config_selectorIfEEZNS1_11reduce_implILb1ES3_N6thrust23THRUST_200600_302600_NS11hip_rocprim26transform_input_iterator_tIfNS8_17counting_iteratorIiNS8_11use_defaultESC_SC_EE11estimate_piEEPffNS8_4plusIfEEEE10hipError_tPvRmT1_T2_T3_mT4_P12ihipStream_tbEUlT_E1_NS1_11comp_targetILNS1_3genE10ELNS1_11target_archE1200ELNS1_3gpuE4ELNS1_3repE0EEENS1_30default_config_static_selectorELNS0_4arch9wavefront6targetE0EEEvSM_: ; @_ZN7rocprim17ROCPRIM_400000_NS6detail17trampoline_kernelINS0_14default_configENS1_22reduce_config_selectorIfEEZNS1_11reduce_implILb1ES3_N6thrust23THRUST_200600_302600_NS11hip_rocprim26transform_input_iterator_tIfNS8_17counting_iteratorIiNS8_11use_defaultESC_SC_EE11estimate_piEEPffNS8_4plusIfEEEE10hipError_tPvRmT1_T2_T3_mT4_P12ihipStream_tbEUlT_E1_NS1_11comp_targetILNS1_3genE10ELNS1_11target_archE1200ELNS1_3gpuE4ELNS1_3repE0EEENS1_30default_config_static_selectorELNS0_4arch9wavefront6targetE0EEEvSM_
; %bb.0:
	.section	.rodata,"a",@progbits
	.p2align	6, 0x0
	.amdhsa_kernel _ZN7rocprim17ROCPRIM_400000_NS6detail17trampoline_kernelINS0_14default_configENS1_22reduce_config_selectorIfEEZNS1_11reduce_implILb1ES3_N6thrust23THRUST_200600_302600_NS11hip_rocprim26transform_input_iterator_tIfNS8_17counting_iteratorIiNS8_11use_defaultESC_SC_EE11estimate_piEEPffNS8_4plusIfEEEE10hipError_tPvRmT1_T2_T3_mT4_P12ihipStream_tbEUlT_E1_NS1_11comp_targetILNS1_3genE10ELNS1_11target_archE1200ELNS1_3gpuE4ELNS1_3repE0EEENS1_30default_config_static_selectorELNS0_4arch9wavefront6targetE0EEEvSM_
		.amdhsa_group_segment_fixed_size 0
		.amdhsa_private_segment_fixed_size 0
		.amdhsa_kernarg_size 40
		.amdhsa_user_sgpr_count 2
		.amdhsa_user_sgpr_dispatch_ptr 0
		.amdhsa_user_sgpr_queue_ptr 0
		.amdhsa_user_sgpr_kernarg_segment_ptr 1
		.amdhsa_user_sgpr_dispatch_id 0
		.amdhsa_user_sgpr_kernarg_preload_length 0
		.amdhsa_user_sgpr_kernarg_preload_offset 0
		.amdhsa_user_sgpr_private_segment_size 0
		.amdhsa_wavefront_size32 1
		.amdhsa_uses_dynamic_stack 0
		.amdhsa_enable_private_segment 0
		.amdhsa_system_sgpr_workgroup_id_x 1
		.amdhsa_system_sgpr_workgroup_id_y 0
		.amdhsa_system_sgpr_workgroup_id_z 0
		.amdhsa_system_sgpr_workgroup_info 0
		.amdhsa_system_vgpr_workitem_id 0
		.amdhsa_next_free_vgpr 1
		.amdhsa_next_free_sgpr 1
		.amdhsa_named_barrier_count 0
		.amdhsa_reserve_vcc 0
		.amdhsa_float_round_mode_32 0
		.amdhsa_float_round_mode_16_64 0
		.amdhsa_float_denorm_mode_32 3
		.amdhsa_float_denorm_mode_16_64 3
		.amdhsa_fp16_overflow 0
		.amdhsa_memory_ordered 1
		.amdhsa_forward_progress 1
		.amdhsa_inst_pref_size 0
		.amdhsa_round_robin_scheduling 0
		.amdhsa_exception_fp_ieee_invalid_op 0
		.amdhsa_exception_fp_denorm_src 0
		.amdhsa_exception_fp_ieee_div_zero 0
		.amdhsa_exception_fp_ieee_overflow 0
		.amdhsa_exception_fp_ieee_underflow 0
		.amdhsa_exception_fp_ieee_inexact 0
		.amdhsa_exception_int_div_zero 0
	.end_amdhsa_kernel
	.section	.text._ZN7rocprim17ROCPRIM_400000_NS6detail17trampoline_kernelINS0_14default_configENS1_22reduce_config_selectorIfEEZNS1_11reduce_implILb1ES3_N6thrust23THRUST_200600_302600_NS11hip_rocprim26transform_input_iterator_tIfNS8_17counting_iteratorIiNS8_11use_defaultESC_SC_EE11estimate_piEEPffNS8_4plusIfEEEE10hipError_tPvRmT1_T2_T3_mT4_P12ihipStream_tbEUlT_E1_NS1_11comp_targetILNS1_3genE10ELNS1_11target_archE1200ELNS1_3gpuE4ELNS1_3repE0EEENS1_30default_config_static_selectorELNS0_4arch9wavefront6targetE0EEEvSM_,"axG",@progbits,_ZN7rocprim17ROCPRIM_400000_NS6detail17trampoline_kernelINS0_14default_configENS1_22reduce_config_selectorIfEEZNS1_11reduce_implILb1ES3_N6thrust23THRUST_200600_302600_NS11hip_rocprim26transform_input_iterator_tIfNS8_17counting_iteratorIiNS8_11use_defaultESC_SC_EE11estimate_piEEPffNS8_4plusIfEEEE10hipError_tPvRmT1_T2_T3_mT4_P12ihipStream_tbEUlT_E1_NS1_11comp_targetILNS1_3genE10ELNS1_11target_archE1200ELNS1_3gpuE4ELNS1_3repE0EEENS1_30default_config_static_selectorELNS0_4arch9wavefront6targetE0EEEvSM_,comdat
.Lfunc_end33:
	.size	_ZN7rocprim17ROCPRIM_400000_NS6detail17trampoline_kernelINS0_14default_configENS1_22reduce_config_selectorIfEEZNS1_11reduce_implILb1ES3_N6thrust23THRUST_200600_302600_NS11hip_rocprim26transform_input_iterator_tIfNS8_17counting_iteratorIiNS8_11use_defaultESC_SC_EE11estimate_piEEPffNS8_4plusIfEEEE10hipError_tPvRmT1_T2_T3_mT4_P12ihipStream_tbEUlT_E1_NS1_11comp_targetILNS1_3genE10ELNS1_11target_archE1200ELNS1_3gpuE4ELNS1_3repE0EEENS1_30default_config_static_selectorELNS0_4arch9wavefront6targetE0EEEvSM_, .Lfunc_end33-_ZN7rocprim17ROCPRIM_400000_NS6detail17trampoline_kernelINS0_14default_configENS1_22reduce_config_selectorIfEEZNS1_11reduce_implILb1ES3_N6thrust23THRUST_200600_302600_NS11hip_rocprim26transform_input_iterator_tIfNS8_17counting_iteratorIiNS8_11use_defaultESC_SC_EE11estimate_piEEPffNS8_4plusIfEEEE10hipError_tPvRmT1_T2_T3_mT4_P12ihipStream_tbEUlT_E1_NS1_11comp_targetILNS1_3genE10ELNS1_11target_archE1200ELNS1_3gpuE4ELNS1_3repE0EEENS1_30default_config_static_selectorELNS0_4arch9wavefront6targetE0EEEvSM_
                                        ; -- End function
	.set _ZN7rocprim17ROCPRIM_400000_NS6detail17trampoline_kernelINS0_14default_configENS1_22reduce_config_selectorIfEEZNS1_11reduce_implILb1ES3_N6thrust23THRUST_200600_302600_NS11hip_rocprim26transform_input_iterator_tIfNS8_17counting_iteratorIiNS8_11use_defaultESC_SC_EE11estimate_piEEPffNS8_4plusIfEEEE10hipError_tPvRmT1_T2_T3_mT4_P12ihipStream_tbEUlT_E1_NS1_11comp_targetILNS1_3genE10ELNS1_11target_archE1200ELNS1_3gpuE4ELNS1_3repE0EEENS1_30default_config_static_selectorELNS0_4arch9wavefront6targetE0EEEvSM_.num_vgpr, 0
	.set _ZN7rocprim17ROCPRIM_400000_NS6detail17trampoline_kernelINS0_14default_configENS1_22reduce_config_selectorIfEEZNS1_11reduce_implILb1ES3_N6thrust23THRUST_200600_302600_NS11hip_rocprim26transform_input_iterator_tIfNS8_17counting_iteratorIiNS8_11use_defaultESC_SC_EE11estimate_piEEPffNS8_4plusIfEEEE10hipError_tPvRmT1_T2_T3_mT4_P12ihipStream_tbEUlT_E1_NS1_11comp_targetILNS1_3genE10ELNS1_11target_archE1200ELNS1_3gpuE4ELNS1_3repE0EEENS1_30default_config_static_selectorELNS0_4arch9wavefront6targetE0EEEvSM_.num_agpr, 0
	.set _ZN7rocprim17ROCPRIM_400000_NS6detail17trampoline_kernelINS0_14default_configENS1_22reduce_config_selectorIfEEZNS1_11reduce_implILb1ES3_N6thrust23THRUST_200600_302600_NS11hip_rocprim26transform_input_iterator_tIfNS8_17counting_iteratorIiNS8_11use_defaultESC_SC_EE11estimate_piEEPffNS8_4plusIfEEEE10hipError_tPvRmT1_T2_T3_mT4_P12ihipStream_tbEUlT_E1_NS1_11comp_targetILNS1_3genE10ELNS1_11target_archE1200ELNS1_3gpuE4ELNS1_3repE0EEENS1_30default_config_static_selectorELNS0_4arch9wavefront6targetE0EEEvSM_.numbered_sgpr, 0
	.set _ZN7rocprim17ROCPRIM_400000_NS6detail17trampoline_kernelINS0_14default_configENS1_22reduce_config_selectorIfEEZNS1_11reduce_implILb1ES3_N6thrust23THRUST_200600_302600_NS11hip_rocprim26transform_input_iterator_tIfNS8_17counting_iteratorIiNS8_11use_defaultESC_SC_EE11estimate_piEEPffNS8_4plusIfEEEE10hipError_tPvRmT1_T2_T3_mT4_P12ihipStream_tbEUlT_E1_NS1_11comp_targetILNS1_3genE10ELNS1_11target_archE1200ELNS1_3gpuE4ELNS1_3repE0EEENS1_30default_config_static_selectorELNS0_4arch9wavefront6targetE0EEEvSM_.num_named_barrier, 0
	.set _ZN7rocprim17ROCPRIM_400000_NS6detail17trampoline_kernelINS0_14default_configENS1_22reduce_config_selectorIfEEZNS1_11reduce_implILb1ES3_N6thrust23THRUST_200600_302600_NS11hip_rocprim26transform_input_iterator_tIfNS8_17counting_iteratorIiNS8_11use_defaultESC_SC_EE11estimate_piEEPffNS8_4plusIfEEEE10hipError_tPvRmT1_T2_T3_mT4_P12ihipStream_tbEUlT_E1_NS1_11comp_targetILNS1_3genE10ELNS1_11target_archE1200ELNS1_3gpuE4ELNS1_3repE0EEENS1_30default_config_static_selectorELNS0_4arch9wavefront6targetE0EEEvSM_.private_seg_size, 0
	.set _ZN7rocprim17ROCPRIM_400000_NS6detail17trampoline_kernelINS0_14default_configENS1_22reduce_config_selectorIfEEZNS1_11reduce_implILb1ES3_N6thrust23THRUST_200600_302600_NS11hip_rocprim26transform_input_iterator_tIfNS8_17counting_iteratorIiNS8_11use_defaultESC_SC_EE11estimate_piEEPffNS8_4plusIfEEEE10hipError_tPvRmT1_T2_T3_mT4_P12ihipStream_tbEUlT_E1_NS1_11comp_targetILNS1_3genE10ELNS1_11target_archE1200ELNS1_3gpuE4ELNS1_3repE0EEENS1_30default_config_static_selectorELNS0_4arch9wavefront6targetE0EEEvSM_.uses_vcc, 0
	.set _ZN7rocprim17ROCPRIM_400000_NS6detail17trampoline_kernelINS0_14default_configENS1_22reduce_config_selectorIfEEZNS1_11reduce_implILb1ES3_N6thrust23THRUST_200600_302600_NS11hip_rocprim26transform_input_iterator_tIfNS8_17counting_iteratorIiNS8_11use_defaultESC_SC_EE11estimate_piEEPffNS8_4plusIfEEEE10hipError_tPvRmT1_T2_T3_mT4_P12ihipStream_tbEUlT_E1_NS1_11comp_targetILNS1_3genE10ELNS1_11target_archE1200ELNS1_3gpuE4ELNS1_3repE0EEENS1_30default_config_static_selectorELNS0_4arch9wavefront6targetE0EEEvSM_.uses_flat_scratch, 0
	.set _ZN7rocprim17ROCPRIM_400000_NS6detail17trampoline_kernelINS0_14default_configENS1_22reduce_config_selectorIfEEZNS1_11reduce_implILb1ES3_N6thrust23THRUST_200600_302600_NS11hip_rocprim26transform_input_iterator_tIfNS8_17counting_iteratorIiNS8_11use_defaultESC_SC_EE11estimate_piEEPffNS8_4plusIfEEEE10hipError_tPvRmT1_T2_T3_mT4_P12ihipStream_tbEUlT_E1_NS1_11comp_targetILNS1_3genE10ELNS1_11target_archE1200ELNS1_3gpuE4ELNS1_3repE0EEENS1_30default_config_static_selectorELNS0_4arch9wavefront6targetE0EEEvSM_.has_dyn_sized_stack, 0
	.set _ZN7rocprim17ROCPRIM_400000_NS6detail17trampoline_kernelINS0_14default_configENS1_22reduce_config_selectorIfEEZNS1_11reduce_implILb1ES3_N6thrust23THRUST_200600_302600_NS11hip_rocprim26transform_input_iterator_tIfNS8_17counting_iteratorIiNS8_11use_defaultESC_SC_EE11estimate_piEEPffNS8_4plusIfEEEE10hipError_tPvRmT1_T2_T3_mT4_P12ihipStream_tbEUlT_E1_NS1_11comp_targetILNS1_3genE10ELNS1_11target_archE1200ELNS1_3gpuE4ELNS1_3repE0EEENS1_30default_config_static_selectorELNS0_4arch9wavefront6targetE0EEEvSM_.has_recursion, 0
	.set _ZN7rocprim17ROCPRIM_400000_NS6detail17trampoline_kernelINS0_14default_configENS1_22reduce_config_selectorIfEEZNS1_11reduce_implILb1ES3_N6thrust23THRUST_200600_302600_NS11hip_rocprim26transform_input_iterator_tIfNS8_17counting_iteratorIiNS8_11use_defaultESC_SC_EE11estimate_piEEPffNS8_4plusIfEEEE10hipError_tPvRmT1_T2_T3_mT4_P12ihipStream_tbEUlT_E1_NS1_11comp_targetILNS1_3genE10ELNS1_11target_archE1200ELNS1_3gpuE4ELNS1_3repE0EEENS1_30default_config_static_selectorELNS0_4arch9wavefront6targetE0EEEvSM_.has_indirect_call, 0
	.section	.AMDGPU.csdata,"",@progbits
; Kernel info:
; codeLenInByte = 0
; TotalNumSgprs: 0
; NumVgprs: 0
; ScratchSize: 0
; MemoryBound: 0
; FloatMode: 240
; IeeeMode: 1
; LDSByteSize: 0 bytes/workgroup (compile time only)
; SGPRBlocks: 0
; VGPRBlocks: 0
; NumSGPRsForWavesPerEU: 1
; NumVGPRsForWavesPerEU: 1
; NamedBarCnt: 0
; Occupancy: 16
; WaveLimiterHint : 0
; COMPUTE_PGM_RSRC2:SCRATCH_EN: 0
; COMPUTE_PGM_RSRC2:USER_SGPR: 2
; COMPUTE_PGM_RSRC2:TRAP_HANDLER: 0
; COMPUTE_PGM_RSRC2:TGID_X_EN: 1
; COMPUTE_PGM_RSRC2:TGID_Y_EN: 0
; COMPUTE_PGM_RSRC2:TGID_Z_EN: 0
; COMPUTE_PGM_RSRC2:TIDIG_COMP_CNT: 0
	.section	.text._ZN7rocprim17ROCPRIM_400000_NS6detail17trampoline_kernelINS0_14default_configENS1_22reduce_config_selectorIfEEZNS1_11reduce_implILb1ES3_N6thrust23THRUST_200600_302600_NS11hip_rocprim26transform_input_iterator_tIfNS8_17counting_iteratorIiNS8_11use_defaultESC_SC_EE11estimate_piEEPffNS8_4plusIfEEEE10hipError_tPvRmT1_T2_T3_mT4_P12ihipStream_tbEUlT_E1_NS1_11comp_targetILNS1_3genE9ELNS1_11target_archE1100ELNS1_3gpuE3ELNS1_3repE0EEENS1_30default_config_static_selectorELNS0_4arch9wavefront6targetE0EEEvSM_,"axG",@progbits,_ZN7rocprim17ROCPRIM_400000_NS6detail17trampoline_kernelINS0_14default_configENS1_22reduce_config_selectorIfEEZNS1_11reduce_implILb1ES3_N6thrust23THRUST_200600_302600_NS11hip_rocprim26transform_input_iterator_tIfNS8_17counting_iteratorIiNS8_11use_defaultESC_SC_EE11estimate_piEEPffNS8_4plusIfEEEE10hipError_tPvRmT1_T2_T3_mT4_P12ihipStream_tbEUlT_E1_NS1_11comp_targetILNS1_3genE9ELNS1_11target_archE1100ELNS1_3gpuE3ELNS1_3repE0EEENS1_30default_config_static_selectorELNS0_4arch9wavefront6targetE0EEEvSM_,comdat
	.protected	_ZN7rocprim17ROCPRIM_400000_NS6detail17trampoline_kernelINS0_14default_configENS1_22reduce_config_selectorIfEEZNS1_11reduce_implILb1ES3_N6thrust23THRUST_200600_302600_NS11hip_rocprim26transform_input_iterator_tIfNS8_17counting_iteratorIiNS8_11use_defaultESC_SC_EE11estimate_piEEPffNS8_4plusIfEEEE10hipError_tPvRmT1_T2_T3_mT4_P12ihipStream_tbEUlT_E1_NS1_11comp_targetILNS1_3genE9ELNS1_11target_archE1100ELNS1_3gpuE3ELNS1_3repE0EEENS1_30default_config_static_selectorELNS0_4arch9wavefront6targetE0EEEvSM_ ; -- Begin function _ZN7rocprim17ROCPRIM_400000_NS6detail17trampoline_kernelINS0_14default_configENS1_22reduce_config_selectorIfEEZNS1_11reduce_implILb1ES3_N6thrust23THRUST_200600_302600_NS11hip_rocprim26transform_input_iterator_tIfNS8_17counting_iteratorIiNS8_11use_defaultESC_SC_EE11estimate_piEEPffNS8_4plusIfEEEE10hipError_tPvRmT1_T2_T3_mT4_P12ihipStream_tbEUlT_E1_NS1_11comp_targetILNS1_3genE9ELNS1_11target_archE1100ELNS1_3gpuE3ELNS1_3repE0EEENS1_30default_config_static_selectorELNS0_4arch9wavefront6targetE0EEEvSM_
	.globl	_ZN7rocprim17ROCPRIM_400000_NS6detail17trampoline_kernelINS0_14default_configENS1_22reduce_config_selectorIfEEZNS1_11reduce_implILb1ES3_N6thrust23THRUST_200600_302600_NS11hip_rocprim26transform_input_iterator_tIfNS8_17counting_iteratorIiNS8_11use_defaultESC_SC_EE11estimate_piEEPffNS8_4plusIfEEEE10hipError_tPvRmT1_T2_T3_mT4_P12ihipStream_tbEUlT_E1_NS1_11comp_targetILNS1_3genE9ELNS1_11target_archE1100ELNS1_3gpuE3ELNS1_3repE0EEENS1_30default_config_static_selectorELNS0_4arch9wavefront6targetE0EEEvSM_
	.p2align	8
	.type	_ZN7rocprim17ROCPRIM_400000_NS6detail17trampoline_kernelINS0_14default_configENS1_22reduce_config_selectorIfEEZNS1_11reduce_implILb1ES3_N6thrust23THRUST_200600_302600_NS11hip_rocprim26transform_input_iterator_tIfNS8_17counting_iteratorIiNS8_11use_defaultESC_SC_EE11estimate_piEEPffNS8_4plusIfEEEE10hipError_tPvRmT1_T2_T3_mT4_P12ihipStream_tbEUlT_E1_NS1_11comp_targetILNS1_3genE9ELNS1_11target_archE1100ELNS1_3gpuE3ELNS1_3repE0EEENS1_30default_config_static_selectorELNS0_4arch9wavefront6targetE0EEEvSM_,@function
_ZN7rocprim17ROCPRIM_400000_NS6detail17trampoline_kernelINS0_14default_configENS1_22reduce_config_selectorIfEEZNS1_11reduce_implILb1ES3_N6thrust23THRUST_200600_302600_NS11hip_rocprim26transform_input_iterator_tIfNS8_17counting_iteratorIiNS8_11use_defaultESC_SC_EE11estimate_piEEPffNS8_4plusIfEEEE10hipError_tPvRmT1_T2_T3_mT4_P12ihipStream_tbEUlT_E1_NS1_11comp_targetILNS1_3genE9ELNS1_11target_archE1100ELNS1_3gpuE3ELNS1_3repE0EEENS1_30default_config_static_selectorELNS0_4arch9wavefront6targetE0EEEvSM_: ; @_ZN7rocprim17ROCPRIM_400000_NS6detail17trampoline_kernelINS0_14default_configENS1_22reduce_config_selectorIfEEZNS1_11reduce_implILb1ES3_N6thrust23THRUST_200600_302600_NS11hip_rocprim26transform_input_iterator_tIfNS8_17counting_iteratorIiNS8_11use_defaultESC_SC_EE11estimate_piEEPffNS8_4plusIfEEEE10hipError_tPvRmT1_T2_T3_mT4_P12ihipStream_tbEUlT_E1_NS1_11comp_targetILNS1_3genE9ELNS1_11target_archE1100ELNS1_3gpuE3ELNS1_3repE0EEENS1_30default_config_static_selectorELNS0_4arch9wavefront6targetE0EEEvSM_
; %bb.0:
	.section	.rodata,"a",@progbits
	.p2align	6, 0x0
	.amdhsa_kernel _ZN7rocprim17ROCPRIM_400000_NS6detail17trampoline_kernelINS0_14default_configENS1_22reduce_config_selectorIfEEZNS1_11reduce_implILb1ES3_N6thrust23THRUST_200600_302600_NS11hip_rocprim26transform_input_iterator_tIfNS8_17counting_iteratorIiNS8_11use_defaultESC_SC_EE11estimate_piEEPffNS8_4plusIfEEEE10hipError_tPvRmT1_T2_T3_mT4_P12ihipStream_tbEUlT_E1_NS1_11comp_targetILNS1_3genE9ELNS1_11target_archE1100ELNS1_3gpuE3ELNS1_3repE0EEENS1_30default_config_static_selectorELNS0_4arch9wavefront6targetE0EEEvSM_
		.amdhsa_group_segment_fixed_size 0
		.amdhsa_private_segment_fixed_size 0
		.amdhsa_kernarg_size 40
		.amdhsa_user_sgpr_count 2
		.amdhsa_user_sgpr_dispatch_ptr 0
		.amdhsa_user_sgpr_queue_ptr 0
		.amdhsa_user_sgpr_kernarg_segment_ptr 1
		.amdhsa_user_sgpr_dispatch_id 0
		.amdhsa_user_sgpr_kernarg_preload_length 0
		.amdhsa_user_sgpr_kernarg_preload_offset 0
		.amdhsa_user_sgpr_private_segment_size 0
		.amdhsa_wavefront_size32 1
		.amdhsa_uses_dynamic_stack 0
		.amdhsa_enable_private_segment 0
		.amdhsa_system_sgpr_workgroup_id_x 1
		.amdhsa_system_sgpr_workgroup_id_y 0
		.amdhsa_system_sgpr_workgroup_id_z 0
		.amdhsa_system_sgpr_workgroup_info 0
		.amdhsa_system_vgpr_workitem_id 0
		.amdhsa_next_free_vgpr 1
		.amdhsa_next_free_sgpr 1
		.amdhsa_named_barrier_count 0
		.amdhsa_reserve_vcc 0
		.amdhsa_float_round_mode_32 0
		.amdhsa_float_round_mode_16_64 0
		.amdhsa_float_denorm_mode_32 3
		.amdhsa_float_denorm_mode_16_64 3
		.amdhsa_fp16_overflow 0
		.amdhsa_memory_ordered 1
		.amdhsa_forward_progress 1
		.amdhsa_inst_pref_size 0
		.amdhsa_round_robin_scheduling 0
		.amdhsa_exception_fp_ieee_invalid_op 0
		.amdhsa_exception_fp_denorm_src 0
		.amdhsa_exception_fp_ieee_div_zero 0
		.amdhsa_exception_fp_ieee_overflow 0
		.amdhsa_exception_fp_ieee_underflow 0
		.amdhsa_exception_fp_ieee_inexact 0
		.amdhsa_exception_int_div_zero 0
	.end_amdhsa_kernel
	.section	.text._ZN7rocprim17ROCPRIM_400000_NS6detail17trampoline_kernelINS0_14default_configENS1_22reduce_config_selectorIfEEZNS1_11reduce_implILb1ES3_N6thrust23THRUST_200600_302600_NS11hip_rocprim26transform_input_iterator_tIfNS8_17counting_iteratorIiNS8_11use_defaultESC_SC_EE11estimate_piEEPffNS8_4plusIfEEEE10hipError_tPvRmT1_T2_T3_mT4_P12ihipStream_tbEUlT_E1_NS1_11comp_targetILNS1_3genE9ELNS1_11target_archE1100ELNS1_3gpuE3ELNS1_3repE0EEENS1_30default_config_static_selectorELNS0_4arch9wavefront6targetE0EEEvSM_,"axG",@progbits,_ZN7rocprim17ROCPRIM_400000_NS6detail17trampoline_kernelINS0_14default_configENS1_22reduce_config_selectorIfEEZNS1_11reduce_implILb1ES3_N6thrust23THRUST_200600_302600_NS11hip_rocprim26transform_input_iterator_tIfNS8_17counting_iteratorIiNS8_11use_defaultESC_SC_EE11estimate_piEEPffNS8_4plusIfEEEE10hipError_tPvRmT1_T2_T3_mT4_P12ihipStream_tbEUlT_E1_NS1_11comp_targetILNS1_3genE9ELNS1_11target_archE1100ELNS1_3gpuE3ELNS1_3repE0EEENS1_30default_config_static_selectorELNS0_4arch9wavefront6targetE0EEEvSM_,comdat
.Lfunc_end34:
	.size	_ZN7rocprim17ROCPRIM_400000_NS6detail17trampoline_kernelINS0_14default_configENS1_22reduce_config_selectorIfEEZNS1_11reduce_implILb1ES3_N6thrust23THRUST_200600_302600_NS11hip_rocprim26transform_input_iterator_tIfNS8_17counting_iteratorIiNS8_11use_defaultESC_SC_EE11estimate_piEEPffNS8_4plusIfEEEE10hipError_tPvRmT1_T2_T3_mT4_P12ihipStream_tbEUlT_E1_NS1_11comp_targetILNS1_3genE9ELNS1_11target_archE1100ELNS1_3gpuE3ELNS1_3repE0EEENS1_30default_config_static_selectorELNS0_4arch9wavefront6targetE0EEEvSM_, .Lfunc_end34-_ZN7rocprim17ROCPRIM_400000_NS6detail17trampoline_kernelINS0_14default_configENS1_22reduce_config_selectorIfEEZNS1_11reduce_implILb1ES3_N6thrust23THRUST_200600_302600_NS11hip_rocprim26transform_input_iterator_tIfNS8_17counting_iteratorIiNS8_11use_defaultESC_SC_EE11estimate_piEEPffNS8_4plusIfEEEE10hipError_tPvRmT1_T2_T3_mT4_P12ihipStream_tbEUlT_E1_NS1_11comp_targetILNS1_3genE9ELNS1_11target_archE1100ELNS1_3gpuE3ELNS1_3repE0EEENS1_30default_config_static_selectorELNS0_4arch9wavefront6targetE0EEEvSM_
                                        ; -- End function
	.set _ZN7rocprim17ROCPRIM_400000_NS6detail17trampoline_kernelINS0_14default_configENS1_22reduce_config_selectorIfEEZNS1_11reduce_implILb1ES3_N6thrust23THRUST_200600_302600_NS11hip_rocprim26transform_input_iterator_tIfNS8_17counting_iteratorIiNS8_11use_defaultESC_SC_EE11estimate_piEEPffNS8_4plusIfEEEE10hipError_tPvRmT1_T2_T3_mT4_P12ihipStream_tbEUlT_E1_NS1_11comp_targetILNS1_3genE9ELNS1_11target_archE1100ELNS1_3gpuE3ELNS1_3repE0EEENS1_30default_config_static_selectorELNS0_4arch9wavefront6targetE0EEEvSM_.num_vgpr, 0
	.set _ZN7rocprim17ROCPRIM_400000_NS6detail17trampoline_kernelINS0_14default_configENS1_22reduce_config_selectorIfEEZNS1_11reduce_implILb1ES3_N6thrust23THRUST_200600_302600_NS11hip_rocprim26transform_input_iterator_tIfNS8_17counting_iteratorIiNS8_11use_defaultESC_SC_EE11estimate_piEEPffNS8_4plusIfEEEE10hipError_tPvRmT1_T2_T3_mT4_P12ihipStream_tbEUlT_E1_NS1_11comp_targetILNS1_3genE9ELNS1_11target_archE1100ELNS1_3gpuE3ELNS1_3repE0EEENS1_30default_config_static_selectorELNS0_4arch9wavefront6targetE0EEEvSM_.num_agpr, 0
	.set _ZN7rocprim17ROCPRIM_400000_NS6detail17trampoline_kernelINS0_14default_configENS1_22reduce_config_selectorIfEEZNS1_11reduce_implILb1ES3_N6thrust23THRUST_200600_302600_NS11hip_rocprim26transform_input_iterator_tIfNS8_17counting_iteratorIiNS8_11use_defaultESC_SC_EE11estimate_piEEPffNS8_4plusIfEEEE10hipError_tPvRmT1_T2_T3_mT4_P12ihipStream_tbEUlT_E1_NS1_11comp_targetILNS1_3genE9ELNS1_11target_archE1100ELNS1_3gpuE3ELNS1_3repE0EEENS1_30default_config_static_selectorELNS0_4arch9wavefront6targetE0EEEvSM_.numbered_sgpr, 0
	.set _ZN7rocprim17ROCPRIM_400000_NS6detail17trampoline_kernelINS0_14default_configENS1_22reduce_config_selectorIfEEZNS1_11reduce_implILb1ES3_N6thrust23THRUST_200600_302600_NS11hip_rocprim26transform_input_iterator_tIfNS8_17counting_iteratorIiNS8_11use_defaultESC_SC_EE11estimate_piEEPffNS8_4plusIfEEEE10hipError_tPvRmT1_T2_T3_mT4_P12ihipStream_tbEUlT_E1_NS1_11comp_targetILNS1_3genE9ELNS1_11target_archE1100ELNS1_3gpuE3ELNS1_3repE0EEENS1_30default_config_static_selectorELNS0_4arch9wavefront6targetE0EEEvSM_.num_named_barrier, 0
	.set _ZN7rocprim17ROCPRIM_400000_NS6detail17trampoline_kernelINS0_14default_configENS1_22reduce_config_selectorIfEEZNS1_11reduce_implILb1ES3_N6thrust23THRUST_200600_302600_NS11hip_rocprim26transform_input_iterator_tIfNS8_17counting_iteratorIiNS8_11use_defaultESC_SC_EE11estimate_piEEPffNS8_4plusIfEEEE10hipError_tPvRmT1_T2_T3_mT4_P12ihipStream_tbEUlT_E1_NS1_11comp_targetILNS1_3genE9ELNS1_11target_archE1100ELNS1_3gpuE3ELNS1_3repE0EEENS1_30default_config_static_selectorELNS0_4arch9wavefront6targetE0EEEvSM_.private_seg_size, 0
	.set _ZN7rocprim17ROCPRIM_400000_NS6detail17trampoline_kernelINS0_14default_configENS1_22reduce_config_selectorIfEEZNS1_11reduce_implILb1ES3_N6thrust23THRUST_200600_302600_NS11hip_rocprim26transform_input_iterator_tIfNS8_17counting_iteratorIiNS8_11use_defaultESC_SC_EE11estimate_piEEPffNS8_4plusIfEEEE10hipError_tPvRmT1_T2_T3_mT4_P12ihipStream_tbEUlT_E1_NS1_11comp_targetILNS1_3genE9ELNS1_11target_archE1100ELNS1_3gpuE3ELNS1_3repE0EEENS1_30default_config_static_selectorELNS0_4arch9wavefront6targetE0EEEvSM_.uses_vcc, 0
	.set _ZN7rocprim17ROCPRIM_400000_NS6detail17trampoline_kernelINS0_14default_configENS1_22reduce_config_selectorIfEEZNS1_11reduce_implILb1ES3_N6thrust23THRUST_200600_302600_NS11hip_rocprim26transform_input_iterator_tIfNS8_17counting_iteratorIiNS8_11use_defaultESC_SC_EE11estimate_piEEPffNS8_4plusIfEEEE10hipError_tPvRmT1_T2_T3_mT4_P12ihipStream_tbEUlT_E1_NS1_11comp_targetILNS1_3genE9ELNS1_11target_archE1100ELNS1_3gpuE3ELNS1_3repE0EEENS1_30default_config_static_selectorELNS0_4arch9wavefront6targetE0EEEvSM_.uses_flat_scratch, 0
	.set _ZN7rocprim17ROCPRIM_400000_NS6detail17trampoline_kernelINS0_14default_configENS1_22reduce_config_selectorIfEEZNS1_11reduce_implILb1ES3_N6thrust23THRUST_200600_302600_NS11hip_rocprim26transform_input_iterator_tIfNS8_17counting_iteratorIiNS8_11use_defaultESC_SC_EE11estimate_piEEPffNS8_4plusIfEEEE10hipError_tPvRmT1_T2_T3_mT4_P12ihipStream_tbEUlT_E1_NS1_11comp_targetILNS1_3genE9ELNS1_11target_archE1100ELNS1_3gpuE3ELNS1_3repE0EEENS1_30default_config_static_selectorELNS0_4arch9wavefront6targetE0EEEvSM_.has_dyn_sized_stack, 0
	.set _ZN7rocprim17ROCPRIM_400000_NS6detail17trampoline_kernelINS0_14default_configENS1_22reduce_config_selectorIfEEZNS1_11reduce_implILb1ES3_N6thrust23THRUST_200600_302600_NS11hip_rocprim26transform_input_iterator_tIfNS8_17counting_iteratorIiNS8_11use_defaultESC_SC_EE11estimate_piEEPffNS8_4plusIfEEEE10hipError_tPvRmT1_T2_T3_mT4_P12ihipStream_tbEUlT_E1_NS1_11comp_targetILNS1_3genE9ELNS1_11target_archE1100ELNS1_3gpuE3ELNS1_3repE0EEENS1_30default_config_static_selectorELNS0_4arch9wavefront6targetE0EEEvSM_.has_recursion, 0
	.set _ZN7rocprim17ROCPRIM_400000_NS6detail17trampoline_kernelINS0_14default_configENS1_22reduce_config_selectorIfEEZNS1_11reduce_implILb1ES3_N6thrust23THRUST_200600_302600_NS11hip_rocprim26transform_input_iterator_tIfNS8_17counting_iteratorIiNS8_11use_defaultESC_SC_EE11estimate_piEEPffNS8_4plusIfEEEE10hipError_tPvRmT1_T2_T3_mT4_P12ihipStream_tbEUlT_E1_NS1_11comp_targetILNS1_3genE9ELNS1_11target_archE1100ELNS1_3gpuE3ELNS1_3repE0EEENS1_30default_config_static_selectorELNS0_4arch9wavefront6targetE0EEEvSM_.has_indirect_call, 0
	.section	.AMDGPU.csdata,"",@progbits
; Kernel info:
; codeLenInByte = 0
; TotalNumSgprs: 0
; NumVgprs: 0
; ScratchSize: 0
; MemoryBound: 0
; FloatMode: 240
; IeeeMode: 1
; LDSByteSize: 0 bytes/workgroup (compile time only)
; SGPRBlocks: 0
; VGPRBlocks: 0
; NumSGPRsForWavesPerEU: 1
; NumVGPRsForWavesPerEU: 1
; NamedBarCnt: 0
; Occupancy: 16
; WaveLimiterHint : 0
; COMPUTE_PGM_RSRC2:SCRATCH_EN: 0
; COMPUTE_PGM_RSRC2:USER_SGPR: 2
; COMPUTE_PGM_RSRC2:TRAP_HANDLER: 0
; COMPUTE_PGM_RSRC2:TGID_X_EN: 1
; COMPUTE_PGM_RSRC2:TGID_Y_EN: 0
; COMPUTE_PGM_RSRC2:TGID_Z_EN: 0
; COMPUTE_PGM_RSRC2:TIDIG_COMP_CNT: 0
	.section	.text._ZN7rocprim17ROCPRIM_400000_NS6detail17trampoline_kernelINS0_14default_configENS1_22reduce_config_selectorIfEEZNS1_11reduce_implILb1ES3_N6thrust23THRUST_200600_302600_NS11hip_rocprim26transform_input_iterator_tIfNS8_17counting_iteratorIiNS8_11use_defaultESC_SC_EE11estimate_piEEPffNS8_4plusIfEEEE10hipError_tPvRmT1_T2_T3_mT4_P12ihipStream_tbEUlT_E1_NS1_11comp_targetILNS1_3genE8ELNS1_11target_archE1030ELNS1_3gpuE2ELNS1_3repE0EEENS1_30default_config_static_selectorELNS0_4arch9wavefront6targetE0EEEvSM_,"axG",@progbits,_ZN7rocprim17ROCPRIM_400000_NS6detail17trampoline_kernelINS0_14default_configENS1_22reduce_config_selectorIfEEZNS1_11reduce_implILb1ES3_N6thrust23THRUST_200600_302600_NS11hip_rocprim26transform_input_iterator_tIfNS8_17counting_iteratorIiNS8_11use_defaultESC_SC_EE11estimate_piEEPffNS8_4plusIfEEEE10hipError_tPvRmT1_T2_T3_mT4_P12ihipStream_tbEUlT_E1_NS1_11comp_targetILNS1_3genE8ELNS1_11target_archE1030ELNS1_3gpuE2ELNS1_3repE0EEENS1_30default_config_static_selectorELNS0_4arch9wavefront6targetE0EEEvSM_,comdat
	.protected	_ZN7rocprim17ROCPRIM_400000_NS6detail17trampoline_kernelINS0_14default_configENS1_22reduce_config_selectorIfEEZNS1_11reduce_implILb1ES3_N6thrust23THRUST_200600_302600_NS11hip_rocprim26transform_input_iterator_tIfNS8_17counting_iteratorIiNS8_11use_defaultESC_SC_EE11estimate_piEEPffNS8_4plusIfEEEE10hipError_tPvRmT1_T2_T3_mT4_P12ihipStream_tbEUlT_E1_NS1_11comp_targetILNS1_3genE8ELNS1_11target_archE1030ELNS1_3gpuE2ELNS1_3repE0EEENS1_30default_config_static_selectorELNS0_4arch9wavefront6targetE0EEEvSM_ ; -- Begin function _ZN7rocprim17ROCPRIM_400000_NS6detail17trampoline_kernelINS0_14default_configENS1_22reduce_config_selectorIfEEZNS1_11reduce_implILb1ES3_N6thrust23THRUST_200600_302600_NS11hip_rocprim26transform_input_iterator_tIfNS8_17counting_iteratorIiNS8_11use_defaultESC_SC_EE11estimate_piEEPffNS8_4plusIfEEEE10hipError_tPvRmT1_T2_T3_mT4_P12ihipStream_tbEUlT_E1_NS1_11comp_targetILNS1_3genE8ELNS1_11target_archE1030ELNS1_3gpuE2ELNS1_3repE0EEENS1_30default_config_static_selectorELNS0_4arch9wavefront6targetE0EEEvSM_
	.globl	_ZN7rocprim17ROCPRIM_400000_NS6detail17trampoline_kernelINS0_14default_configENS1_22reduce_config_selectorIfEEZNS1_11reduce_implILb1ES3_N6thrust23THRUST_200600_302600_NS11hip_rocprim26transform_input_iterator_tIfNS8_17counting_iteratorIiNS8_11use_defaultESC_SC_EE11estimate_piEEPffNS8_4plusIfEEEE10hipError_tPvRmT1_T2_T3_mT4_P12ihipStream_tbEUlT_E1_NS1_11comp_targetILNS1_3genE8ELNS1_11target_archE1030ELNS1_3gpuE2ELNS1_3repE0EEENS1_30default_config_static_selectorELNS0_4arch9wavefront6targetE0EEEvSM_
	.p2align	8
	.type	_ZN7rocprim17ROCPRIM_400000_NS6detail17trampoline_kernelINS0_14default_configENS1_22reduce_config_selectorIfEEZNS1_11reduce_implILb1ES3_N6thrust23THRUST_200600_302600_NS11hip_rocprim26transform_input_iterator_tIfNS8_17counting_iteratorIiNS8_11use_defaultESC_SC_EE11estimate_piEEPffNS8_4plusIfEEEE10hipError_tPvRmT1_T2_T3_mT4_P12ihipStream_tbEUlT_E1_NS1_11comp_targetILNS1_3genE8ELNS1_11target_archE1030ELNS1_3gpuE2ELNS1_3repE0EEENS1_30default_config_static_selectorELNS0_4arch9wavefront6targetE0EEEvSM_,@function
_ZN7rocprim17ROCPRIM_400000_NS6detail17trampoline_kernelINS0_14default_configENS1_22reduce_config_selectorIfEEZNS1_11reduce_implILb1ES3_N6thrust23THRUST_200600_302600_NS11hip_rocprim26transform_input_iterator_tIfNS8_17counting_iteratorIiNS8_11use_defaultESC_SC_EE11estimate_piEEPffNS8_4plusIfEEEE10hipError_tPvRmT1_T2_T3_mT4_P12ihipStream_tbEUlT_E1_NS1_11comp_targetILNS1_3genE8ELNS1_11target_archE1030ELNS1_3gpuE2ELNS1_3repE0EEENS1_30default_config_static_selectorELNS0_4arch9wavefront6targetE0EEEvSM_: ; @_ZN7rocprim17ROCPRIM_400000_NS6detail17trampoline_kernelINS0_14default_configENS1_22reduce_config_selectorIfEEZNS1_11reduce_implILb1ES3_N6thrust23THRUST_200600_302600_NS11hip_rocprim26transform_input_iterator_tIfNS8_17counting_iteratorIiNS8_11use_defaultESC_SC_EE11estimate_piEEPffNS8_4plusIfEEEE10hipError_tPvRmT1_T2_T3_mT4_P12ihipStream_tbEUlT_E1_NS1_11comp_targetILNS1_3genE8ELNS1_11target_archE1030ELNS1_3gpuE2ELNS1_3repE0EEENS1_30default_config_static_selectorELNS0_4arch9wavefront6targetE0EEEvSM_
; %bb.0:
	.section	.rodata,"a",@progbits
	.p2align	6, 0x0
	.amdhsa_kernel _ZN7rocprim17ROCPRIM_400000_NS6detail17trampoline_kernelINS0_14default_configENS1_22reduce_config_selectorIfEEZNS1_11reduce_implILb1ES3_N6thrust23THRUST_200600_302600_NS11hip_rocprim26transform_input_iterator_tIfNS8_17counting_iteratorIiNS8_11use_defaultESC_SC_EE11estimate_piEEPffNS8_4plusIfEEEE10hipError_tPvRmT1_T2_T3_mT4_P12ihipStream_tbEUlT_E1_NS1_11comp_targetILNS1_3genE8ELNS1_11target_archE1030ELNS1_3gpuE2ELNS1_3repE0EEENS1_30default_config_static_selectorELNS0_4arch9wavefront6targetE0EEEvSM_
		.amdhsa_group_segment_fixed_size 0
		.amdhsa_private_segment_fixed_size 0
		.amdhsa_kernarg_size 40
		.amdhsa_user_sgpr_count 2
		.amdhsa_user_sgpr_dispatch_ptr 0
		.amdhsa_user_sgpr_queue_ptr 0
		.amdhsa_user_sgpr_kernarg_segment_ptr 1
		.amdhsa_user_sgpr_dispatch_id 0
		.amdhsa_user_sgpr_kernarg_preload_length 0
		.amdhsa_user_sgpr_kernarg_preload_offset 0
		.amdhsa_user_sgpr_private_segment_size 0
		.amdhsa_wavefront_size32 1
		.amdhsa_uses_dynamic_stack 0
		.amdhsa_enable_private_segment 0
		.amdhsa_system_sgpr_workgroup_id_x 1
		.amdhsa_system_sgpr_workgroup_id_y 0
		.amdhsa_system_sgpr_workgroup_id_z 0
		.amdhsa_system_sgpr_workgroup_info 0
		.amdhsa_system_vgpr_workitem_id 0
		.amdhsa_next_free_vgpr 1
		.amdhsa_next_free_sgpr 1
		.amdhsa_named_barrier_count 0
		.amdhsa_reserve_vcc 0
		.amdhsa_float_round_mode_32 0
		.amdhsa_float_round_mode_16_64 0
		.amdhsa_float_denorm_mode_32 3
		.amdhsa_float_denorm_mode_16_64 3
		.amdhsa_fp16_overflow 0
		.amdhsa_memory_ordered 1
		.amdhsa_forward_progress 1
		.amdhsa_inst_pref_size 0
		.amdhsa_round_robin_scheduling 0
		.amdhsa_exception_fp_ieee_invalid_op 0
		.amdhsa_exception_fp_denorm_src 0
		.amdhsa_exception_fp_ieee_div_zero 0
		.amdhsa_exception_fp_ieee_overflow 0
		.amdhsa_exception_fp_ieee_underflow 0
		.amdhsa_exception_fp_ieee_inexact 0
		.amdhsa_exception_int_div_zero 0
	.end_amdhsa_kernel
	.section	.text._ZN7rocprim17ROCPRIM_400000_NS6detail17trampoline_kernelINS0_14default_configENS1_22reduce_config_selectorIfEEZNS1_11reduce_implILb1ES3_N6thrust23THRUST_200600_302600_NS11hip_rocprim26transform_input_iterator_tIfNS8_17counting_iteratorIiNS8_11use_defaultESC_SC_EE11estimate_piEEPffNS8_4plusIfEEEE10hipError_tPvRmT1_T2_T3_mT4_P12ihipStream_tbEUlT_E1_NS1_11comp_targetILNS1_3genE8ELNS1_11target_archE1030ELNS1_3gpuE2ELNS1_3repE0EEENS1_30default_config_static_selectorELNS0_4arch9wavefront6targetE0EEEvSM_,"axG",@progbits,_ZN7rocprim17ROCPRIM_400000_NS6detail17trampoline_kernelINS0_14default_configENS1_22reduce_config_selectorIfEEZNS1_11reduce_implILb1ES3_N6thrust23THRUST_200600_302600_NS11hip_rocprim26transform_input_iterator_tIfNS8_17counting_iteratorIiNS8_11use_defaultESC_SC_EE11estimate_piEEPffNS8_4plusIfEEEE10hipError_tPvRmT1_T2_T3_mT4_P12ihipStream_tbEUlT_E1_NS1_11comp_targetILNS1_3genE8ELNS1_11target_archE1030ELNS1_3gpuE2ELNS1_3repE0EEENS1_30default_config_static_selectorELNS0_4arch9wavefront6targetE0EEEvSM_,comdat
.Lfunc_end35:
	.size	_ZN7rocprim17ROCPRIM_400000_NS6detail17trampoline_kernelINS0_14default_configENS1_22reduce_config_selectorIfEEZNS1_11reduce_implILb1ES3_N6thrust23THRUST_200600_302600_NS11hip_rocprim26transform_input_iterator_tIfNS8_17counting_iteratorIiNS8_11use_defaultESC_SC_EE11estimate_piEEPffNS8_4plusIfEEEE10hipError_tPvRmT1_T2_T3_mT4_P12ihipStream_tbEUlT_E1_NS1_11comp_targetILNS1_3genE8ELNS1_11target_archE1030ELNS1_3gpuE2ELNS1_3repE0EEENS1_30default_config_static_selectorELNS0_4arch9wavefront6targetE0EEEvSM_, .Lfunc_end35-_ZN7rocprim17ROCPRIM_400000_NS6detail17trampoline_kernelINS0_14default_configENS1_22reduce_config_selectorIfEEZNS1_11reduce_implILb1ES3_N6thrust23THRUST_200600_302600_NS11hip_rocprim26transform_input_iterator_tIfNS8_17counting_iteratorIiNS8_11use_defaultESC_SC_EE11estimate_piEEPffNS8_4plusIfEEEE10hipError_tPvRmT1_T2_T3_mT4_P12ihipStream_tbEUlT_E1_NS1_11comp_targetILNS1_3genE8ELNS1_11target_archE1030ELNS1_3gpuE2ELNS1_3repE0EEENS1_30default_config_static_selectorELNS0_4arch9wavefront6targetE0EEEvSM_
                                        ; -- End function
	.set _ZN7rocprim17ROCPRIM_400000_NS6detail17trampoline_kernelINS0_14default_configENS1_22reduce_config_selectorIfEEZNS1_11reduce_implILb1ES3_N6thrust23THRUST_200600_302600_NS11hip_rocprim26transform_input_iterator_tIfNS8_17counting_iteratorIiNS8_11use_defaultESC_SC_EE11estimate_piEEPffNS8_4plusIfEEEE10hipError_tPvRmT1_T2_T3_mT4_P12ihipStream_tbEUlT_E1_NS1_11comp_targetILNS1_3genE8ELNS1_11target_archE1030ELNS1_3gpuE2ELNS1_3repE0EEENS1_30default_config_static_selectorELNS0_4arch9wavefront6targetE0EEEvSM_.num_vgpr, 0
	.set _ZN7rocprim17ROCPRIM_400000_NS6detail17trampoline_kernelINS0_14default_configENS1_22reduce_config_selectorIfEEZNS1_11reduce_implILb1ES3_N6thrust23THRUST_200600_302600_NS11hip_rocprim26transform_input_iterator_tIfNS8_17counting_iteratorIiNS8_11use_defaultESC_SC_EE11estimate_piEEPffNS8_4plusIfEEEE10hipError_tPvRmT1_T2_T3_mT4_P12ihipStream_tbEUlT_E1_NS1_11comp_targetILNS1_3genE8ELNS1_11target_archE1030ELNS1_3gpuE2ELNS1_3repE0EEENS1_30default_config_static_selectorELNS0_4arch9wavefront6targetE0EEEvSM_.num_agpr, 0
	.set _ZN7rocprim17ROCPRIM_400000_NS6detail17trampoline_kernelINS0_14default_configENS1_22reduce_config_selectorIfEEZNS1_11reduce_implILb1ES3_N6thrust23THRUST_200600_302600_NS11hip_rocprim26transform_input_iterator_tIfNS8_17counting_iteratorIiNS8_11use_defaultESC_SC_EE11estimate_piEEPffNS8_4plusIfEEEE10hipError_tPvRmT1_T2_T3_mT4_P12ihipStream_tbEUlT_E1_NS1_11comp_targetILNS1_3genE8ELNS1_11target_archE1030ELNS1_3gpuE2ELNS1_3repE0EEENS1_30default_config_static_selectorELNS0_4arch9wavefront6targetE0EEEvSM_.numbered_sgpr, 0
	.set _ZN7rocprim17ROCPRIM_400000_NS6detail17trampoline_kernelINS0_14default_configENS1_22reduce_config_selectorIfEEZNS1_11reduce_implILb1ES3_N6thrust23THRUST_200600_302600_NS11hip_rocprim26transform_input_iterator_tIfNS8_17counting_iteratorIiNS8_11use_defaultESC_SC_EE11estimate_piEEPffNS8_4plusIfEEEE10hipError_tPvRmT1_T2_T3_mT4_P12ihipStream_tbEUlT_E1_NS1_11comp_targetILNS1_3genE8ELNS1_11target_archE1030ELNS1_3gpuE2ELNS1_3repE0EEENS1_30default_config_static_selectorELNS0_4arch9wavefront6targetE0EEEvSM_.num_named_barrier, 0
	.set _ZN7rocprim17ROCPRIM_400000_NS6detail17trampoline_kernelINS0_14default_configENS1_22reduce_config_selectorIfEEZNS1_11reduce_implILb1ES3_N6thrust23THRUST_200600_302600_NS11hip_rocprim26transform_input_iterator_tIfNS8_17counting_iteratorIiNS8_11use_defaultESC_SC_EE11estimate_piEEPffNS8_4plusIfEEEE10hipError_tPvRmT1_T2_T3_mT4_P12ihipStream_tbEUlT_E1_NS1_11comp_targetILNS1_3genE8ELNS1_11target_archE1030ELNS1_3gpuE2ELNS1_3repE0EEENS1_30default_config_static_selectorELNS0_4arch9wavefront6targetE0EEEvSM_.private_seg_size, 0
	.set _ZN7rocprim17ROCPRIM_400000_NS6detail17trampoline_kernelINS0_14default_configENS1_22reduce_config_selectorIfEEZNS1_11reduce_implILb1ES3_N6thrust23THRUST_200600_302600_NS11hip_rocprim26transform_input_iterator_tIfNS8_17counting_iteratorIiNS8_11use_defaultESC_SC_EE11estimate_piEEPffNS8_4plusIfEEEE10hipError_tPvRmT1_T2_T3_mT4_P12ihipStream_tbEUlT_E1_NS1_11comp_targetILNS1_3genE8ELNS1_11target_archE1030ELNS1_3gpuE2ELNS1_3repE0EEENS1_30default_config_static_selectorELNS0_4arch9wavefront6targetE0EEEvSM_.uses_vcc, 0
	.set _ZN7rocprim17ROCPRIM_400000_NS6detail17trampoline_kernelINS0_14default_configENS1_22reduce_config_selectorIfEEZNS1_11reduce_implILb1ES3_N6thrust23THRUST_200600_302600_NS11hip_rocprim26transform_input_iterator_tIfNS8_17counting_iteratorIiNS8_11use_defaultESC_SC_EE11estimate_piEEPffNS8_4plusIfEEEE10hipError_tPvRmT1_T2_T3_mT4_P12ihipStream_tbEUlT_E1_NS1_11comp_targetILNS1_3genE8ELNS1_11target_archE1030ELNS1_3gpuE2ELNS1_3repE0EEENS1_30default_config_static_selectorELNS0_4arch9wavefront6targetE0EEEvSM_.uses_flat_scratch, 0
	.set _ZN7rocprim17ROCPRIM_400000_NS6detail17trampoline_kernelINS0_14default_configENS1_22reduce_config_selectorIfEEZNS1_11reduce_implILb1ES3_N6thrust23THRUST_200600_302600_NS11hip_rocprim26transform_input_iterator_tIfNS8_17counting_iteratorIiNS8_11use_defaultESC_SC_EE11estimate_piEEPffNS8_4plusIfEEEE10hipError_tPvRmT1_T2_T3_mT4_P12ihipStream_tbEUlT_E1_NS1_11comp_targetILNS1_3genE8ELNS1_11target_archE1030ELNS1_3gpuE2ELNS1_3repE0EEENS1_30default_config_static_selectorELNS0_4arch9wavefront6targetE0EEEvSM_.has_dyn_sized_stack, 0
	.set _ZN7rocprim17ROCPRIM_400000_NS6detail17trampoline_kernelINS0_14default_configENS1_22reduce_config_selectorIfEEZNS1_11reduce_implILb1ES3_N6thrust23THRUST_200600_302600_NS11hip_rocprim26transform_input_iterator_tIfNS8_17counting_iteratorIiNS8_11use_defaultESC_SC_EE11estimate_piEEPffNS8_4plusIfEEEE10hipError_tPvRmT1_T2_T3_mT4_P12ihipStream_tbEUlT_E1_NS1_11comp_targetILNS1_3genE8ELNS1_11target_archE1030ELNS1_3gpuE2ELNS1_3repE0EEENS1_30default_config_static_selectorELNS0_4arch9wavefront6targetE0EEEvSM_.has_recursion, 0
	.set _ZN7rocprim17ROCPRIM_400000_NS6detail17trampoline_kernelINS0_14default_configENS1_22reduce_config_selectorIfEEZNS1_11reduce_implILb1ES3_N6thrust23THRUST_200600_302600_NS11hip_rocprim26transform_input_iterator_tIfNS8_17counting_iteratorIiNS8_11use_defaultESC_SC_EE11estimate_piEEPffNS8_4plusIfEEEE10hipError_tPvRmT1_T2_T3_mT4_P12ihipStream_tbEUlT_E1_NS1_11comp_targetILNS1_3genE8ELNS1_11target_archE1030ELNS1_3gpuE2ELNS1_3repE0EEENS1_30default_config_static_selectorELNS0_4arch9wavefront6targetE0EEEvSM_.has_indirect_call, 0
	.section	.AMDGPU.csdata,"",@progbits
; Kernel info:
; codeLenInByte = 0
; TotalNumSgprs: 0
; NumVgprs: 0
; ScratchSize: 0
; MemoryBound: 0
; FloatMode: 240
; IeeeMode: 1
; LDSByteSize: 0 bytes/workgroup (compile time only)
; SGPRBlocks: 0
; VGPRBlocks: 0
; NumSGPRsForWavesPerEU: 1
; NumVGPRsForWavesPerEU: 1
; NamedBarCnt: 0
; Occupancy: 16
; WaveLimiterHint : 0
; COMPUTE_PGM_RSRC2:SCRATCH_EN: 0
; COMPUTE_PGM_RSRC2:USER_SGPR: 2
; COMPUTE_PGM_RSRC2:TRAP_HANDLER: 0
; COMPUTE_PGM_RSRC2:TGID_X_EN: 1
; COMPUTE_PGM_RSRC2:TGID_Y_EN: 0
; COMPUTE_PGM_RSRC2:TGID_Z_EN: 0
; COMPUTE_PGM_RSRC2:TIDIG_COMP_CNT: 0
	.section	.AMDGPU.gpr_maximums,"",@progbits
	.set amdgpu.max_num_vgpr, 0
	.set amdgpu.max_num_agpr, 0
	.set amdgpu.max_num_sgpr, 0
	.section	.AMDGPU.csdata,"",@progbits
	.type	__hip_cuid_d84b22272828726d,@object ; @__hip_cuid_d84b22272828726d
	.section	.bss,"aw",@nobits
	.globl	__hip_cuid_d84b22272828726d
__hip_cuid_d84b22272828726d:
	.byte	0                               ; 0x0
	.size	__hip_cuid_d84b22272828726d, 1

	.ident	"AMD clang version 22.0.0git (https://github.com/RadeonOpenCompute/llvm-project roc-7.2.4 26084 f58b06dce1f9c15707c5f808fd002e18c2accf7e)"
	.section	".note.GNU-stack","",@progbits
	.addrsig
	.addrsig_sym __hip_cuid_d84b22272828726d
	.amdgpu_metadata
---
amdhsa.kernels:
  - .args:
      - .offset:         0
        .size:           56
        .value_kind:     by_value
    .group_segment_fixed_size: 64
    .kernarg_segment_align: 8
    .kernarg_segment_size: 56
    .language:       OpenCL C
    .language_version:
      - 2
      - 0
    .max_flat_workgroup_size: 256
    .name:           _ZN7rocprim17ROCPRIM_400000_NS6detail17trampoline_kernelINS0_14default_configENS1_22reduce_config_selectorIfEEZNS1_11reduce_implILb1ES3_PfS7_fN6thrust23THRUST_200600_302600_NS4plusIfEEEE10hipError_tPvRmT1_T2_T3_mT4_P12ihipStream_tbEUlT_E0_NS1_11comp_targetILNS1_3genE0ELNS1_11target_archE4294967295ELNS1_3gpuE0ELNS1_3repE0EEENS1_30default_config_static_selectorELNS0_4arch9wavefront6targetE0EEEvSF_
    .private_segment_fixed_size: 0
    .sgpr_count:     22
    .sgpr_spill_count: 0
    .symbol:         _ZN7rocprim17ROCPRIM_400000_NS6detail17trampoline_kernelINS0_14default_configENS1_22reduce_config_selectorIfEEZNS1_11reduce_implILb1ES3_PfS7_fN6thrust23THRUST_200600_302600_NS4plusIfEEEE10hipError_tPvRmT1_T2_T3_mT4_P12ihipStream_tbEUlT_E0_NS1_11comp_targetILNS1_3genE0ELNS1_11target_archE4294967295ELNS1_3gpuE0ELNS1_3repE0EEENS1_30default_config_static_selectorELNS0_4arch9wavefront6targetE0EEEvSF_.kd
    .uniform_work_group_size: 1
    .uses_dynamic_stack: false
    .vgpr_count:     9
    .vgpr_spill_count: 0
    .wavefront_size: 32
  - .args:
      - .offset:         0
        .size:           56
        .value_kind:     by_value
    .group_segment_fixed_size: 0
    .kernarg_segment_align: 8
    .kernarg_segment_size: 56
    .language:       OpenCL C
    .language_version:
      - 2
      - 0
    .max_flat_workgroup_size: 128
    .name:           _ZN7rocprim17ROCPRIM_400000_NS6detail17trampoline_kernelINS0_14default_configENS1_22reduce_config_selectorIfEEZNS1_11reduce_implILb1ES3_PfS7_fN6thrust23THRUST_200600_302600_NS4plusIfEEEE10hipError_tPvRmT1_T2_T3_mT4_P12ihipStream_tbEUlT_E0_NS1_11comp_targetILNS1_3genE5ELNS1_11target_archE942ELNS1_3gpuE9ELNS1_3repE0EEENS1_30default_config_static_selectorELNS0_4arch9wavefront6targetE0EEEvSF_
    .private_segment_fixed_size: 0
    .sgpr_count:     0
    .sgpr_spill_count: 0
    .symbol:         _ZN7rocprim17ROCPRIM_400000_NS6detail17trampoline_kernelINS0_14default_configENS1_22reduce_config_selectorIfEEZNS1_11reduce_implILb1ES3_PfS7_fN6thrust23THRUST_200600_302600_NS4plusIfEEEE10hipError_tPvRmT1_T2_T3_mT4_P12ihipStream_tbEUlT_E0_NS1_11comp_targetILNS1_3genE5ELNS1_11target_archE942ELNS1_3gpuE9ELNS1_3repE0EEENS1_30default_config_static_selectorELNS0_4arch9wavefront6targetE0EEEvSF_.kd
    .uniform_work_group_size: 1
    .uses_dynamic_stack: false
    .vgpr_count:     0
    .vgpr_spill_count: 0
    .wavefront_size: 32
  - .args:
      - .offset:         0
        .size:           56
        .value_kind:     by_value
    .group_segment_fixed_size: 0
    .kernarg_segment_align: 8
    .kernarg_segment_size: 56
    .language:       OpenCL C
    .language_version:
      - 2
      - 0
    .max_flat_workgroup_size: 128
    .name:           _ZN7rocprim17ROCPRIM_400000_NS6detail17trampoline_kernelINS0_14default_configENS1_22reduce_config_selectorIfEEZNS1_11reduce_implILb1ES3_PfS7_fN6thrust23THRUST_200600_302600_NS4plusIfEEEE10hipError_tPvRmT1_T2_T3_mT4_P12ihipStream_tbEUlT_E0_NS1_11comp_targetILNS1_3genE4ELNS1_11target_archE910ELNS1_3gpuE8ELNS1_3repE0EEENS1_30default_config_static_selectorELNS0_4arch9wavefront6targetE0EEEvSF_
    .private_segment_fixed_size: 0
    .sgpr_count:     0
    .sgpr_spill_count: 0
    .symbol:         _ZN7rocprim17ROCPRIM_400000_NS6detail17trampoline_kernelINS0_14default_configENS1_22reduce_config_selectorIfEEZNS1_11reduce_implILb1ES3_PfS7_fN6thrust23THRUST_200600_302600_NS4plusIfEEEE10hipError_tPvRmT1_T2_T3_mT4_P12ihipStream_tbEUlT_E0_NS1_11comp_targetILNS1_3genE4ELNS1_11target_archE910ELNS1_3gpuE8ELNS1_3repE0EEENS1_30default_config_static_selectorELNS0_4arch9wavefront6targetE0EEEvSF_.kd
    .uniform_work_group_size: 1
    .uses_dynamic_stack: false
    .vgpr_count:     0
    .vgpr_spill_count: 0
    .wavefront_size: 32
  - .args:
      - .offset:         0
        .size:           56
        .value_kind:     by_value
    .group_segment_fixed_size: 0
    .kernarg_segment_align: 8
    .kernarg_segment_size: 56
    .language:       OpenCL C
    .language_version:
      - 2
      - 0
    .max_flat_workgroup_size: 256
    .name:           _ZN7rocprim17ROCPRIM_400000_NS6detail17trampoline_kernelINS0_14default_configENS1_22reduce_config_selectorIfEEZNS1_11reduce_implILb1ES3_PfS7_fN6thrust23THRUST_200600_302600_NS4plusIfEEEE10hipError_tPvRmT1_T2_T3_mT4_P12ihipStream_tbEUlT_E0_NS1_11comp_targetILNS1_3genE3ELNS1_11target_archE908ELNS1_3gpuE7ELNS1_3repE0EEENS1_30default_config_static_selectorELNS0_4arch9wavefront6targetE0EEEvSF_
    .private_segment_fixed_size: 0
    .sgpr_count:     0
    .sgpr_spill_count: 0
    .symbol:         _ZN7rocprim17ROCPRIM_400000_NS6detail17trampoline_kernelINS0_14default_configENS1_22reduce_config_selectorIfEEZNS1_11reduce_implILb1ES3_PfS7_fN6thrust23THRUST_200600_302600_NS4plusIfEEEE10hipError_tPvRmT1_T2_T3_mT4_P12ihipStream_tbEUlT_E0_NS1_11comp_targetILNS1_3genE3ELNS1_11target_archE908ELNS1_3gpuE7ELNS1_3repE0EEENS1_30default_config_static_selectorELNS0_4arch9wavefront6targetE0EEEvSF_.kd
    .uniform_work_group_size: 1
    .uses_dynamic_stack: false
    .vgpr_count:     0
    .vgpr_spill_count: 0
    .wavefront_size: 32
  - .args:
      - .offset:         0
        .size:           56
        .value_kind:     by_value
    .group_segment_fixed_size: 0
    .kernarg_segment_align: 8
    .kernarg_segment_size: 56
    .language:       OpenCL C
    .language_version:
      - 2
      - 0
    .max_flat_workgroup_size: 256
    .name:           _ZN7rocprim17ROCPRIM_400000_NS6detail17trampoline_kernelINS0_14default_configENS1_22reduce_config_selectorIfEEZNS1_11reduce_implILb1ES3_PfS7_fN6thrust23THRUST_200600_302600_NS4plusIfEEEE10hipError_tPvRmT1_T2_T3_mT4_P12ihipStream_tbEUlT_E0_NS1_11comp_targetILNS1_3genE2ELNS1_11target_archE906ELNS1_3gpuE6ELNS1_3repE0EEENS1_30default_config_static_selectorELNS0_4arch9wavefront6targetE0EEEvSF_
    .private_segment_fixed_size: 0
    .sgpr_count:     0
    .sgpr_spill_count: 0
    .symbol:         _ZN7rocprim17ROCPRIM_400000_NS6detail17trampoline_kernelINS0_14default_configENS1_22reduce_config_selectorIfEEZNS1_11reduce_implILb1ES3_PfS7_fN6thrust23THRUST_200600_302600_NS4plusIfEEEE10hipError_tPvRmT1_T2_T3_mT4_P12ihipStream_tbEUlT_E0_NS1_11comp_targetILNS1_3genE2ELNS1_11target_archE906ELNS1_3gpuE6ELNS1_3repE0EEENS1_30default_config_static_selectorELNS0_4arch9wavefront6targetE0EEEvSF_.kd
    .uniform_work_group_size: 1
    .uses_dynamic_stack: false
    .vgpr_count:     0
    .vgpr_spill_count: 0
    .wavefront_size: 32
  - .args:
      - .offset:         0
        .size:           56
        .value_kind:     by_value
    .group_segment_fixed_size: 0
    .kernarg_segment_align: 8
    .kernarg_segment_size: 56
    .language:       OpenCL C
    .language_version:
      - 2
      - 0
    .max_flat_workgroup_size: 256
    .name:           _ZN7rocprim17ROCPRIM_400000_NS6detail17trampoline_kernelINS0_14default_configENS1_22reduce_config_selectorIfEEZNS1_11reduce_implILb1ES3_PfS7_fN6thrust23THRUST_200600_302600_NS4plusIfEEEE10hipError_tPvRmT1_T2_T3_mT4_P12ihipStream_tbEUlT_E0_NS1_11comp_targetILNS1_3genE10ELNS1_11target_archE1201ELNS1_3gpuE5ELNS1_3repE0EEENS1_30default_config_static_selectorELNS0_4arch9wavefront6targetE0EEEvSF_
    .private_segment_fixed_size: 0
    .sgpr_count:     0
    .sgpr_spill_count: 0
    .symbol:         _ZN7rocprim17ROCPRIM_400000_NS6detail17trampoline_kernelINS0_14default_configENS1_22reduce_config_selectorIfEEZNS1_11reduce_implILb1ES3_PfS7_fN6thrust23THRUST_200600_302600_NS4plusIfEEEE10hipError_tPvRmT1_T2_T3_mT4_P12ihipStream_tbEUlT_E0_NS1_11comp_targetILNS1_3genE10ELNS1_11target_archE1201ELNS1_3gpuE5ELNS1_3repE0EEENS1_30default_config_static_selectorELNS0_4arch9wavefront6targetE0EEEvSF_.kd
    .uniform_work_group_size: 1
    .uses_dynamic_stack: false
    .vgpr_count:     0
    .vgpr_spill_count: 0
    .wavefront_size: 32
  - .args:
      - .offset:         0
        .size:           56
        .value_kind:     by_value
    .group_segment_fixed_size: 0
    .kernarg_segment_align: 8
    .kernarg_segment_size: 56
    .language:       OpenCL C
    .language_version:
      - 2
      - 0
    .max_flat_workgroup_size: 256
    .name:           _ZN7rocprim17ROCPRIM_400000_NS6detail17trampoline_kernelINS0_14default_configENS1_22reduce_config_selectorIfEEZNS1_11reduce_implILb1ES3_PfS7_fN6thrust23THRUST_200600_302600_NS4plusIfEEEE10hipError_tPvRmT1_T2_T3_mT4_P12ihipStream_tbEUlT_E0_NS1_11comp_targetILNS1_3genE10ELNS1_11target_archE1200ELNS1_3gpuE4ELNS1_3repE0EEENS1_30default_config_static_selectorELNS0_4arch9wavefront6targetE0EEEvSF_
    .private_segment_fixed_size: 0
    .sgpr_count:     0
    .sgpr_spill_count: 0
    .symbol:         _ZN7rocprim17ROCPRIM_400000_NS6detail17trampoline_kernelINS0_14default_configENS1_22reduce_config_selectorIfEEZNS1_11reduce_implILb1ES3_PfS7_fN6thrust23THRUST_200600_302600_NS4plusIfEEEE10hipError_tPvRmT1_T2_T3_mT4_P12ihipStream_tbEUlT_E0_NS1_11comp_targetILNS1_3genE10ELNS1_11target_archE1200ELNS1_3gpuE4ELNS1_3repE0EEENS1_30default_config_static_selectorELNS0_4arch9wavefront6targetE0EEEvSF_.kd
    .uniform_work_group_size: 1
    .uses_dynamic_stack: false
    .vgpr_count:     0
    .vgpr_spill_count: 0
    .wavefront_size: 32
  - .args:
      - .offset:         0
        .size:           56
        .value_kind:     by_value
    .group_segment_fixed_size: 0
    .kernarg_segment_align: 8
    .kernarg_segment_size: 56
    .language:       OpenCL C
    .language_version:
      - 2
      - 0
    .max_flat_workgroup_size: 256
    .name:           _ZN7rocprim17ROCPRIM_400000_NS6detail17trampoline_kernelINS0_14default_configENS1_22reduce_config_selectorIfEEZNS1_11reduce_implILb1ES3_PfS7_fN6thrust23THRUST_200600_302600_NS4plusIfEEEE10hipError_tPvRmT1_T2_T3_mT4_P12ihipStream_tbEUlT_E0_NS1_11comp_targetILNS1_3genE9ELNS1_11target_archE1100ELNS1_3gpuE3ELNS1_3repE0EEENS1_30default_config_static_selectorELNS0_4arch9wavefront6targetE0EEEvSF_
    .private_segment_fixed_size: 0
    .sgpr_count:     0
    .sgpr_spill_count: 0
    .symbol:         _ZN7rocprim17ROCPRIM_400000_NS6detail17trampoline_kernelINS0_14default_configENS1_22reduce_config_selectorIfEEZNS1_11reduce_implILb1ES3_PfS7_fN6thrust23THRUST_200600_302600_NS4plusIfEEEE10hipError_tPvRmT1_T2_T3_mT4_P12ihipStream_tbEUlT_E0_NS1_11comp_targetILNS1_3genE9ELNS1_11target_archE1100ELNS1_3gpuE3ELNS1_3repE0EEENS1_30default_config_static_selectorELNS0_4arch9wavefront6targetE0EEEvSF_.kd
    .uniform_work_group_size: 1
    .uses_dynamic_stack: false
    .vgpr_count:     0
    .vgpr_spill_count: 0
    .wavefront_size: 32
  - .args:
      - .offset:         0
        .size:           56
        .value_kind:     by_value
    .group_segment_fixed_size: 0
    .kernarg_segment_align: 8
    .kernarg_segment_size: 56
    .language:       OpenCL C
    .language_version:
      - 2
      - 0
    .max_flat_workgroup_size: 256
    .name:           _ZN7rocprim17ROCPRIM_400000_NS6detail17trampoline_kernelINS0_14default_configENS1_22reduce_config_selectorIfEEZNS1_11reduce_implILb1ES3_PfS7_fN6thrust23THRUST_200600_302600_NS4plusIfEEEE10hipError_tPvRmT1_T2_T3_mT4_P12ihipStream_tbEUlT_E0_NS1_11comp_targetILNS1_3genE8ELNS1_11target_archE1030ELNS1_3gpuE2ELNS1_3repE0EEENS1_30default_config_static_selectorELNS0_4arch9wavefront6targetE0EEEvSF_
    .private_segment_fixed_size: 0
    .sgpr_count:     0
    .sgpr_spill_count: 0
    .symbol:         _ZN7rocprim17ROCPRIM_400000_NS6detail17trampoline_kernelINS0_14default_configENS1_22reduce_config_selectorIfEEZNS1_11reduce_implILb1ES3_PfS7_fN6thrust23THRUST_200600_302600_NS4plusIfEEEE10hipError_tPvRmT1_T2_T3_mT4_P12ihipStream_tbEUlT_E0_NS1_11comp_targetILNS1_3genE8ELNS1_11target_archE1030ELNS1_3gpuE2ELNS1_3repE0EEENS1_30default_config_static_selectorELNS0_4arch9wavefront6targetE0EEEvSF_.kd
    .uniform_work_group_size: 1
    .uses_dynamic_stack: false
    .vgpr_count:     0
    .vgpr_spill_count: 0
    .wavefront_size: 32
  - .args:
      - .offset:         0
        .size:           40
        .value_kind:     by_value
    .group_segment_fixed_size: 224
    .kernarg_segment_align: 8
    .kernarg_segment_size: 40
    .language:       OpenCL C
    .language_version:
      - 2
      - 0
    .max_flat_workgroup_size: 256
    .name:           _ZN7rocprim17ROCPRIM_400000_NS6detail17trampoline_kernelINS0_14default_configENS1_22reduce_config_selectorIfEEZNS1_11reduce_implILb1ES3_PfS7_fN6thrust23THRUST_200600_302600_NS4plusIfEEEE10hipError_tPvRmT1_T2_T3_mT4_P12ihipStream_tbEUlT_E1_NS1_11comp_targetILNS1_3genE0ELNS1_11target_archE4294967295ELNS1_3gpuE0ELNS1_3repE0EEENS1_30default_config_static_selectorELNS0_4arch9wavefront6targetE0EEEvSF_
    .private_segment_fixed_size: 0
    .sgpr_count:     47
    .sgpr_spill_count: 0
    .symbol:         _ZN7rocprim17ROCPRIM_400000_NS6detail17trampoline_kernelINS0_14default_configENS1_22reduce_config_selectorIfEEZNS1_11reduce_implILb1ES3_PfS7_fN6thrust23THRUST_200600_302600_NS4plusIfEEEE10hipError_tPvRmT1_T2_T3_mT4_P12ihipStream_tbEUlT_E1_NS1_11comp_targetILNS1_3genE0ELNS1_11target_archE4294967295ELNS1_3gpuE0ELNS1_3repE0EEENS1_30default_config_static_selectorELNS0_4arch9wavefront6targetE0EEEvSF_.kd
    .uniform_work_group_size: 1
    .uses_dynamic_stack: false
    .vgpr_count:     36
    .vgpr_spill_count: 0
    .wavefront_size: 32
  - .args:
      - .offset:         0
        .size:           40
        .value_kind:     by_value
    .group_segment_fixed_size: 0
    .kernarg_segment_align: 8
    .kernarg_segment_size: 40
    .language:       OpenCL C
    .language_version:
      - 2
      - 0
    .max_flat_workgroup_size: 128
    .name:           _ZN7rocprim17ROCPRIM_400000_NS6detail17trampoline_kernelINS0_14default_configENS1_22reduce_config_selectorIfEEZNS1_11reduce_implILb1ES3_PfS7_fN6thrust23THRUST_200600_302600_NS4plusIfEEEE10hipError_tPvRmT1_T2_T3_mT4_P12ihipStream_tbEUlT_E1_NS1_11comp_targetILNS1_3genE5ELNS1_11target_archE942ELNS1_3gpuE9ELNS1_3repE0EEENS1_30default_config_static_selectorELNS0_4arch9wavefront6targetE0EEEvSF_
    .private_segment_fixed_size: 0
    .sgpr_count:     0
    .sgpr_spill_count: 0
    .symbol:         _ZN7rocprim17ROCPRIM_400000_NS6detail17trampoline_kernelINS0_14default_configENS1_22reduce_config_selectorIfEEZNS1_11reduce_implILb1ES3_PfS7_fN6thrust23THRUST_200600_302600_NS4plusIfEEEE10hipError_tPvRmT1_T2_T3_mT4_P12ihipStream_tbEUlT_E1_NS1_11comp_targetILNS1_3genE5ELNS1_11target_archE942ELNS1_3gpuE9ELNS1_3repE0EEENS1_30default_config_static_selectorELNS0_4arch9wavefront6targetE0EEEvSF_.kd
    .uniform_work_group_size: 1
    .uses_dynamic_stack: false
    .vgpr_count:     0
    .vgpr_spill_count: 0
    .wavefront_size: 32
  - .args:
      - .offset:         0
        .size:           40
        .value_kind:     by_value
    .group_segment_fixed_size: 0
    .kernarg_segment_align: 8
    .kernarg_segment_size: 40
    .language:       OpenCL C
    .language_version:
      - 2
      - 0
    .max_flat_workgroup_size: 128
    .name:           _ZN7rocprim17ROCPRIM_400000_NS6detail17trampoline_kernelINS0_14default_configENS1_22reduce_config_selectorIfEEZNS1_11reduce_implILb1ES3_PfS7_fN6thrust23THRUST_200600_302600_NS4plusIfEEEE10hipError_tPvRmT1_T2_T3_mT4_P12ihipStream_tbEUlT_E1_NS1_11comp_targetILNS1_3genE4ELNS1_11target_archE910ELNS1_3gpuE8ELNS1_3repE0EEENS1_30default_config_static_selectorELNS0_4arch9wavefront6targetE0EEEvSF_
    .private_segment_fixed_size: 0
    .sgpr_count:     0
    .sgpr_spill_count: 0
    .symbol:         _ZN7rocprim17ROCPRIM_400000_NS6detail17trampoline_kernelINS0_14default_configENS1_22reduce_config_selectorIfEEZNS1_11reduce_implILb1ES3_PfS7_fN6thrust23THRUST_200600_302600_NS4plusIfEEEE10hipError_tPvRmT1_T2_T3_mT4_P12ihipStream_tbEUlT_E1_NS1_11comp_targetILNS1_3genE4ELNS1_11target_archE910ELNS1_3gpuE8ELNS1_3repE0EEENS1_30default_config_static_selectorELNS0_4arch9wavefront6targetE0EEEvSF_.kd
    .uniform_work_group_size: 1
    .uses_dynamic_stack: false
    .vgpr_count:     0
    .vgpr_spill_count: 0
    .wavefront_size: 32
  - .args:
      - .offset:         0
        .size:           40
        .value_kind:     by_value
    .group_segment_fixed_size: 0
    .kernarg_segment_align: 8
    .kernarg_segment_size: 40
    .language:       OpenCL C
    .language_version:
      - 2
      - 0
    .max_flat_workgroup_size: 256
    .name:           _ZN7rocprim17ROCPRIM_400000_NS6detail17trampoline_kernelINS0_14default_configENS1_22reduce_config_selectorIfEEZNS1_11reduce_implILb1ES3_PfS7_fN6thrust23THRUST_200600_302600_NS4plusIfEEEE10hipError_tPvRmT1_T2_T3_mT4_P12ihipStream_tbEUlT_E1_NS1_11comp_targetILNS1_3genE3ELNS1_11target_archE908ELNS1_3gpuE7ELNS1_3repE0EEENS1_30default_config_static_selectorELNS0_4arch9wavefront6targetE0EEEvSF_
    .private_segment_fixed_size: 0
    .sgpr_count:     0
    .sgpr_spill_count: 0
    .symbol:         _ZN7rocprim17ROCPRIM_400000_NS6detail17trampoline_kernelINS0_14default_configENS1_22reduce_config_selectorIfEEZNS1_11reduce_implILb1ES3_PfS7_fN6thrust23THRUST_200600_302600_NS4plusIfEEEE10hipError_tPvRmT1_T2_T3_mT4_P12ihipStream_tbEUlT_E1_NS1_11comp_targetILNS1_3genE3ELNS1_11target_archE908ELNS1_3gpuE7ELNS1_3repE0EEENS1_30default_config_static_selectorELNS0_4arch9wavefront6targetE0EEEvSF_.kd
    .uniform_work_group_size: 1
    .uses_dynamic_stack: false
    .vgpr_count:     0
    .vgpr_spill_count: 0
    .wavefront_size: 32
  - .args:
      - .offset:         0
        .size:           40
        .value_kind:     by_value
    .group_segment_fixed_size: 0
    .kernarg_segment_align: 8
    .kernarg_segment_size: 40
    .language:       OpenCL C
    .language_version:
      - 2
      - 0
    .max_flat_workgroup_size: 256
    .name:           _ZN7rocprim17ROCPRIM_400000_NS6detail17trampoline_kernelINS0_14default_configENS1_22reduce_config_selectorIfEEZNS1_11reduce_implILb1ES3_PfS7_fN6thrust23THRUST_200600_302600_NS4plusIfEEEE10hipError_tPvRmT1_T2_T3_mT4_P12ihipStream_tbEUlT_E1_NS1_11comp_targetILNS1_3genE2ELNS1_11target_archE906ELNS1_3gpuE6ELNS1_3repE0EEENS1_30default_config_static_selectorELNS0_4arch9wavefront6targetE0EEEvSF_
    .private_segment_fixed_size: 0
    .sgpr_count:     0
    .sgpr_spill_count: 0
    .symbol:         _ZN7rocprim17ROCPRIM_400000_NS6detail17trampoline_kernelINS0_14default_configENS1_22reduce_config_selectorIfEEZNS1_11reduce_implILb1ES3_PfS7_fN6thrust23THRUST_200600_302600_NS4plusIfEEEE10hipError_tPvRmT1_T2_T3_mT4_P12ihipStream_tbEUlT_E1_NS1_11comp_targetILNS1_3genE2ELNS1_11target_archE906ELNS1_3gpuE6ELNS1_3repE0EEENS1_30default_config_static_selectorELNS0_4arch9wavefront6targetE0EEEvSF_.kd
    .uniform_work_group_size: 1
    .uses_dynamic_stack: false
    .vgpr_count:     0
    .vgpr_spill_count: 0
    .wavefront_size: 32
  - .args:
      - .offset:         0
        .size:           40
        .value_kind:     by_value
    .group_segment_fixed_size: 0
    .kernarg_segment_align: 8
    .kernarg_segment_size: 40
    .language:       OpenCL C
    .language_version:
      - 2
      - 0
    .max_flat_workgroup_size: 256
    .name:           _ZN7rocprim17ROCPRIM_400000_NS6detail17trampoline_kernelINS0_14default_configENS1_22reduce_config_selectorIfEEZNS1_11reduce_implILb1ES3_PfS7_fN6thrust23THRUST_200600_302600_NS4plusIfEEEE10hipError_tPvRmT1_T2_T3_mT4_P12ihipStream_tbEUlT_E1_NS1_11comp_targetILNS1_3genE10ELNS1_11target_archE1201ELNS1_3gpuE5ELNS1_3repE0EEENS1_30default_config_static_selectorELNS0_4arch9wavefront6targetE0EEEvSF_
    .private_segment_fixed_size: 0
    .sgpr_count:     0
    .sgpr_spill_count: 0
    .symbol:         _ZN7rocprim17ROCPRIM_400000_NS6detail17trampoline_kernelINS0_14default_configENS1_22reduce_config_selectorIfEEZNS1_11reduce_implILb1ES3_PfS7_fN6thrust23THRUST_200600_302600_NS4plusIfEEEE10hipError_tPvRmT1_T2_T3_mT4_P12ihipStream_tbEUlT_E1_NS1_11comp_targetILNS1_3genE10ELNS1_11target_archE1201ELNS1_3gpuE5ELNS1_3repE0EEENS1_30default_config_static_selectorELNS0_4arch9wavefront6targetE0EEEvSF_.kd
    .uniform_work_group_size: 1
    .uses_dynamic_stack: false
    .vgpr_count:     0
    .vgpr_spill_count: 0
    .wavefront_size: 32
  - .args:
      - .offset:         0
        .size:           40
        .value_kind:     by_value
    .group_segment_fixed_size: 0
    .kernarg_segment_align: 8
    .kernarg_segment_size: 40
    .language:       OpenCL C
    .language_version:
      - 2
      - 0
    .max_flat_workgroup_size: 256
    .name:           _ZN7rocprim17ROCPRIM_400000_NS6detail17trampoline_kernelINS0_14default_configENS1_22reduce_config_selectorIfEEZNS1_11reduce_implILb1ES3_PfS7_fN6thrust23THRUST_200600_302600_NS4plusIfEEEE10hipError_tPvRmT1_T2_T3_mT4_P12ihipStream_tbEUlT_E1_NS1_11comp_targetILNS1_3genE10ELNS1_11target_archE1200ELNS1_3gpuE4ELNS1_3repE0EEENS1_30default_config_static_selectorELNS0_4arch9wavefront6targetE0EEEvSF_
    .private_segment_fixed_size: 0
    .sgpr_count:     0
    .sgpr_spill_count: 0
    .symbol:         _ZN7rocprim17ROCPRIM_400000_NS6detail17trampoline_kernelINS0_14default_configENS1_22reduce_config_selectorIfEEZNS1_11reduce_implILb1ES3_PfS7_fN6thrust23THRUST_200600_302600_NS4plusIfEEEE10hipError_tPvRmT1_T2_T3_mT4_P12ihipStream_tbEUlT_E1_NS1_11comp_targetILNS1_3genE10ELNS1_11target_archE1200ELNS1_3gpuE4ELNS1_3repE0EEENS1_30default_config_static_selectorELNS0_4arch9wavefront6targetE0EEEvSF_.kd
    .uniform_work_group_size: 1
    .uses_dynamic_stack: false
    .vgpr_count:     0
    .vgpr_spill_count: 0
    .wavefront_size: 32
  - .args:
      - .offset:         0
        .size:           40
        .value_kind:     by_value
    .group_segment_fixed_size: 0
    .kernarg_segment_align: 8
    .kernarg_segment_size: 40
    .language:       OpenCL C
    .language_version:
      - 2
      - 0
    .max_flat_workgroup_size: 256
    .name:           _ZN7rocprim17ROCPRIM_400000_NS6detail17trampoline_kernelINS0_14default_configENS1_22reduce_config_selectorIfEEZNS1_11reduce_implILb1ES3_PfS7_fN6thrust23THRUST_200600_302600_NS4plusIfEEEE10hipError_tPvRmT1_T2_T3_mT4_P12ihipStream_tbEUlT_E1_NS1_11comp_targetILNS1_3genE9ELNS1_11target_archE1100ELNS1_3gpuE3ELNS1_3repE0EEENS1_30default_config_static_selectorELNS0_4arch9wavefront6targetE0EEEvSF_
    .private_segment_fixed_size: 0
    .sgpr_count:     0
    .sgpr_spill_count: 0
    .symbol:         _ZN7rocprim17ROCPRIM_400000_NS6detail17trampoline_kernelINS0_14default_configENS1_22reduce_config_selectorIfEEZNS1_11reduce_implILb1ES3_PfS7_fN6thrust23THRUST_200600_302600_NS4plusIfEEEE10hipError_tPvRmT1_T2_T3_mT4_P12ihipStream_tbEUlT_E1_NS1_11comp_targetILNS1_3genE9ELNS1_11target_archE1100ELNS1_3gpuE3ELNS1_3repE0EEENS1_30default_config_static_selectorELNS0_4arch9wavefront6targetE0EEEvSF_.kd
    .uniform_work_group_size: 1
    .uses_dynamic_stack: false
    .vgpr_count:     0
    .vgpr_spill_count: 0
    .wavefront_size: 32
  - .args:
      - .offset:         0
        .size:           40
        .value_kind:     by_value
    .group_segment_fixed_size: 0
    .kernarg_segment_align: 8
    .kernarg_segment_size: 40
    .language:       OpenCL C
    .language_version:
      - 2
      - 0
    .max_flat_workgroup_size: 256
    .name:           _ZN7rocprim17ROCPRIM_400000_NS6detail17trampoline_kernelINS0_14default_configENS1_22reduce_config_selectorIfEEZNS1_11reduce_implILb1ES3_PfS7_fN6thrust23THRUST_200600_302600_NS4plusIfEEEE10hipError_tPvRmT1_T2_T3_mT4_P12ihipStream_tbEUlT_E1_NS1_11comp_targetILNS1_3genE8ELNS1_11target_archE1030ELNS1_3gpuE2ELNS1_3repE0EEENS1_30default_config_static_selectorELNS0_4arch9wavefront6targetE0EEEvSF_
    .private_segment_fixed_size: 0
    .sgpr_count:     0
    .sgpr_spill_count: 0
    .symbol:         _ZN7rocprim17ROCPRIM_400000_NS6detail17trampoline_kernelINS0_14default_configENS1_22reduce_config_selectorIfEEZNS1_11reduce_implILb1ES3_PfS7_fN6thrust23THRUST_200600_302600_NS4plusIfEEEE10hipError_tPvRmT1_T2_T3_mT4_P12ihipStream_tbEUlT_E1_NS1_11comp_targetILNS1_3genE8ELNS1_11target_archE1030ELNS1_3gpuE2ELNS1_3repE0EEENS1_30default_config_static_selectorELNS0_4arch9wavefront6targetE0EEEvSF_.kd
    .uniform_work_group_size: 1
    .uses_dynamic_stack: false
    .vgpr_count:     0
    .vgpr_spill_count: 0
    .wavefront_size: 32
  - .args:
      - .offset:         0
        .size:           56
        .value_kind:     by_value
    .group_segment_fixed_size: 64
    .kernarg_segment_align: 8
    .kernarg_segment_size: 56
    .language:       OpenCL C
    .language_version:
      - 2
      - 0
    .max_flat_workgroup_size: 256
    .name:           _ZN7rocprim17ROCPRIM_400000_NS6detail17trampoline_kernelINS0_14default_configENS1_22reduce_config_selectorIfEEZNS1_11reduce_implILb1ES3_N6thrust23THRUST_200600_302600_NS11hip_rocprim26transform_input_iterator_tIfNS8_17counting_iteratorIiNS8_11use_defaultESC_SC_EE11estimate_piEEPffNS8_4plusIfEEEE10hipError_tPvRmT1_T2_T3_mT4_P12ihipStream_tbEUlT_E0_NS1_11comp_targetILNS1_3genE0ELNS1_11target_archE4294967295ELNS1_3gpuE0ELNS1_3repE0EEENS1_30default_config_static_selectorELNS0_4arch9wavefront6targetE0EEEvSM_
    .private_segment_fixed_size: 0
    .sgpr_count:     23
    .sgpr_spill_count: 0
    .symbol:         _ZN7rocprim17ROCPRIM_400000_NS6detail17trampoline_kernelINS0_14default_configENS1_22reduce_config_selectorIfEEZNS1_11reduce_implILb1ES3_N6thrust23THRUST_200600_302600_NS11hip_rocprim26transform_input_iterator_tIfNS8_17counting_iteratorIiNS8_11use_defaultESC_SC_EE11estimate_piEEPffNS8_4plusIfEEEE10hipError_tPvRmT1_T2_T3_mT4_P12ihipStream_tbEUlT_E0_NS1_11comp_targetILNS1_3genE0ELNS1_11target_archE4294967295ELNS1_3gpuE0ELNS1_3repE0EEENS1_30default_config_static_selectorELNS0_4arch9wavefront6targetE0EEEvSM_.kd
    .uniform_work_group_size: 1
    .uses_dynamic_stack: false
    .vgpr_count:     23
    .vgpr_spill_count: 0
    .wavefront_size: 32
  - .args:
      - .offset:         0
        .size:           56
        .value_kind:     by_value
    .group_segment_fixed_size: 0
    .kernarg_segment_align: 8
    .kernarg_segment_size: 56
    .language:       OpenCL C
    .language_version:
      - 2
      - 0
    .max_flat_workgroup_size: 128
    .name:           _ZN7rocprim17ROCPRIM_400000_NS6detail17trampoline_kernelINS0_14default_configENS1_22reduce_config_selectorIfEEZNS1_11reduce_implILb1ES3_N6thrust23THRUST_200600_302600_NS11hip_rocprim26transform_input_iterator_tIfNS8_17counting_iteratorIiNS8_11use_defaultESC_SC_EE11estimate_piEEPffNS8_4plusIfEEEE10hipError_tPvRmT1_T2_T3_mT4_P12ihipStream_tbEUlT_E0_NS1_11comp_targetILNS1_3genE5ELNS1_11target_archE942ELNS1_3gpuE9ELNS1_3repE0EEENS1_30default_config_static_selectorELNS0_4arch9wavefront6targetE0EEEvSM_
    .private_segment_fixed_size: 0
    .sgpr_count:     0
    .sgpr_spill_count: 0
    .symbol:         _ZN7rocprim17ROCPRIM_400000_NS6detail17trampoline_kernelINS0_14default_configENS1_22reduce_config_selectorIfEEZNS1_11reduce_implILb1ES3_N6thrust23THRUST_200600_302600_NS11hip_rocprim26transform_input_iterator_tIfNS8_17counting_iteratorIiNS8_11use_defaultESC_SC_EE11estimate_piEEPffNS8_4plusIfEEEE10hipError_tPvRmT1_T2_T3_mT4_P12ihipStream_tbEUlT_E0_NS1_11comp_targetILNS1_3genE5ELNS1_11target_archE942ELNS1_3gpuE9ELNS1_3repE0EEENS1_30default_config_static_selectorELNS0_4arch9wavefront6targetE0EEEvSM_.kd
    .uniform_work_group_size: 1
    .uses_dynamic_stack: false
    .vgpr_count:     0
    .vgpr_spill_count: 0
    .wavefront_size: 32
  - .args:
      - .offset:         0
        .size:           56
        .value_kind:     by_value
    .group_segment_fixed_size: 0
    .kernarg_segment_align: 8
    .kernarg_segment_size: 56
    .language:       OpenCL C
    .language_version:
      - 2
      - 0
    .max_flat_workgroup_size: 128
    .name:           _ZN7rocprim17ROCPRIM_400000_NS6detail17trampoline_kernelINS0_14default_configENS1_22reduce_config_selectorIfEEZNS1_11reduce_implILb1ES3_N6thrust23THRUST_200600_302600_NS11hip_rocprim26transform_input_iterator_tIfNS8_17counting_iteratorIiNS8_11use_defaultESC_SC_EE11estimate_piEEPffNS8_4plusIfEEEE10hipError_tPvRmT1_T2_T3_mT4_P12ihipStream_tbEUlT_E0_NS1_11comp_targetILNS1_3genE4ELNS1_11target_archE910ELNS1_3gpuE8ELNS1_3repE0EEENS1_30default_config_static_selectorELNS0_4arch9wavefront6targetE0EEEvSM_
    .private_segment_fixed_size: 0
    .sgpr_count:     0
    .sgpr_spill_count: 0
    .symbol:         _ZN7rocprim17ROCPRIM_400000_NS6detail17trampoline_kernelINS0_14default_configENS1_22reduce_config_selectorIfEEZNS1_11reduce_implILb1ES3_N6thrust23THRUST_200600_302600_NS11hip_rocprim26transform_input_iterator_tIfNS8_17counting_iteratorIiNS8_11use_defaultESC_SC_EE11estimate_piEEPffNS8_4plusIfEEEE10hipError_tPvRmT1_T2_T3_mT4_P12ihipStream_tbEUlT_E0_NS1_11comp_targetILNS1_3genE4ELNS1_11target_archE910ELNS1_3gpuE8ELNS1_3repE0EEENS1_30default_config_static_selectorELNS0_4arch9wavefront6targetE0EEEvSM_.kd
    .uniform_work_group_size: 1
    .uses_dynamic_stack: false
    .vgpr_count:     0
    .vgpr_spill_count: 0
    .wavefront_size: 32
  - .args:
      - .offset:         0
        .size:           56
        .value_kind:     by_value
    .group_segment_fixed_size: 0
    .kernarg_segment_align: 8
    .kernarg_segment_size: 56
    .language:       OpenCL C
    .language_version:
      - 2
      - 0
    .max_flat_workgroup_size: 256
    .name:           _ZN7rocprim17ROCPRIM_400000_NS6detail17trampoline_kernelINS0_14default_configENS1_22reduce_config_selectorIfEEZNS1_11reduce_implILb1ES3_N6thrust23THRUST_200600_302600_NS11hip_rocprim26transform_input_iterator_tIfNS8_17counting_iteratorIiNS8_11use_defaultESC_SC_EE11estimate_piEEPffNS8_4plusIfEEEE10hipError_tPvRmT1_T2_T3_mT4_P12ihipStream_tbEUlT_E0_NS1_11comp_targetILNS1_3genE3ELNS1_11target_archE908ELNS1_3gpuE7ELNS1_3repE0EEENS1_30default_config_static_selectorELNS0_4arch9wavefront6targetE0EEEvSM_
    .private_segment_fixed_size: 0
    .sgpr_count:     0
    .sgpr_spill_count: 0
    .symbol:         _ZN7rocprim17ROCPRIM_400000_NS6detail17trampoline_kernelINS0_14default_configENS1_22reduce_config_selectorIfEEZNS1_11reduce_implILb1ES3_N6thrust23THRUST_200600_302600_NS11hip_rocprim26transform_input_iterator_tIfNS8_17counting_iteratorIiNS8_11use_defaultESC_SC_EE11estimate_piEEPffNS8_4plusIfEEEE10hipError_tPvRmT1_T2_T3_mT4_P12ihipStream_tbEUlT_E0_NS1_11comp_targetILNS1_3genE3ELNS1_11target_archE908ELNS1_3gpuE7ELNS1_3repE0EEENS1_30default_config_static_selectorELNS0_4arch9wavefront6targetE0EEEvSM_.kd
    .uniform_work_group_size: 1
    .uses_dynamic_stack: false
    .vgpr_count:     0
    .vgpr_spill_count: 0
    .wavefront_size: 32
  - .args:
      - .offset:         0
        .size:           56
        .value_kind:     by_value
    .group_segment_fixed_size: 0
    .kernarg_segment_align: 8
    .kernarg_segment_size: 56
    .language:       OpenCL C
    .language_version:
      - 2
      - 0
    .max_flat_workgroup_size: 256
    .name:           _ZN7rocprim17ROCPRIM_400000_NS6detail17trampoline_kernelINS0_14default_configENS1_22reduce_config_selectorIfEEZNS1_11reduce_implILb1ES3_N6thrust23THRUST_200600_302600_NS11hip_rocprim26transform_input_iterator_tIfNS8_17counting_iteratorIiNS8_11use_defaultESC_SC_EE11estimate_piEEPffNS8_4plusIfEEEE10hipError_tPvRmT1_T2_T3_mT4_P12ihipStream_tbEUlT_E0_NS1_11comp_targetILNS1_3genE2ELNS1_11target_archE906ELNS1_3gpuE6ELNS1_3repE0EEENS1_30default_config_static_selectorELNS0_4arch9wavefront6targetE0EEEvSM_
    .private_segment_fixed_size: 0
    .sgpr_count:     0
    .sgpr_spill_count: 0
    .symbol:         _ZN7rocprim17ROCPRIM_400000_NS6detail17trampoline_kernelINS0_14default_configENS1_22reduce_config_selectorIfEEZNS1_11reduce_implILb1ES3_N6thrust23THRUST_200600_302600_NS11hip_rocprim26transform_input_iterator_tIfNS8_17counting_iteratorIiNS8_11use_defaultESC_SC_EE11estimate_piEEPffNS8_4plusIfEEEE10hipError_tPvRmT1_T2_T3_mT4_P12ihipStream_tbEUlT_E0_NS1_11comp_targetILNS1_3genE2ELNS1_11target_archE906ELNS1_3gpuE6ELNS1_3repE0EEENS1_30default_config_static_selectorELNS0_4arch9wavefront6targetE0EEEvSM_.kd
    .uniform_work_group_size: 1
    .uses_dynamic_stack: false
    .vgpr_count:     0
    .vgpr_spill_count: 0
    .wavefront_size: 32
  - .args:
      - .offset:         0
        .size:           56
        .value_kind:     by_value
    .group_segment_fixed_size: 0
    .kernarg_segment_align: 8
    .kernarg_segment_size: 56
    .language:       OpenCL C
    .language_version:
      - 2
      - 0
    .max_flat_workgroup_size: 256
    .name:           _ZN7rocprim17ROCPRIM_400000_NS6detail17trampoline_kernelINS0_14default_configENS1_22reduce_config_selectorIfEEZNS1_11reduce_implILb1ES3_N6thrust23THRUST_200600_302600_NS11hip_rocprim26transform_input_iterator_tIfNS8_17counting_iteratorIiNS8_11use_defaultESC_SC_EE11estimate_piEEPffNS8_4plusIfEEEE10hipError_tPvRmT1_T2_T3_mT4_P12ihipStream_tbEUlT_E0_NS1_11comp_targetILNS1_3genE10ELNS1_11target_archE1201ELNS1_3gpuE5ELNS1_3repE0EEENS1_30default_config_static_selectorELNS0_4arch9wavefront6targetE0EEEvSM_
    .private_segment_fixed_size: 0
    .sgpr_count:     0
    .sgpr_spill_count: 0
    .symbol:         _ZN7rocprim17ROCPRIM_400000_NS6detail17trampoline_kernelINS0_14default_configENS1_22reduce_config_selectorIfEEZNS1_11reduce_implILb1ES3_N6thrust23THRUST_200600_302600_NS11hip_rocprim26transform_input_iterator_tIfNS8_17counting_iteratorIiNS8_11use_defaultESC_SC_EE11estimate_piEEPffNS8_4plusIfEEEE10hipError_tPvRmT1_T2_T3_mT4_P12ihipStream_tbEUlT_E0_NS1_11comp_targetILNS1_3genE10ELNS1_11target_archE1201ELNS1_3gpuE5ELNS1_3repE0EEENS1_30default_config_static_selectorELNS0_4arch9wavefront6targetE0EEEvSM_.kd
    .uniform_work_group_size: 1
    .uses_dynamic_stack: false
    .vgpr_count:     0
    .vgpr_spill_count: 0
    .wavefront_size: 32
  - .args:
      - .offset:         0
        .size:           56
        .value_kind:     by_value
    .group_segment_fixed_size: 0
    .kernarg_segment_align: 8
    .kernarg_segment_size: 56
    .language:       OpenCL C
    .language_version:
      - 2
      - 0
    .max_flat_workgroup_size: 256
    .name:           _ZN7rocprim17ROCPRIM_400000_NS6detail17trampoline_kernelINS0_14default_configENS1_22reduce_config_selectorIfEEZNS1_11reduce_implILb1ES3_N6thrust23THRUST_200600_302600_NS11hip_rocprim26transform_input_iterator_tIfNS8_17counting_iteratorIiNS8_11use_defaultESC_SC_EE11estimate_piEEPffNS8_4plusIfEEEE10hipError_tPvRmT1_T2_T3_mT4_P12ihipStream_tbEUlT_E0_NS1_11comp_targetILNS1_3genE10ELNS1_11target_archE1200ELNS1_3gpuE4ELNS1_3repE0EEENS1_30default_config_static_selectorELNS0_4arch9wavefront6targetE0EEEvSM_
    .private_segment_fixed_size: 0
    .sgpr_count:     0
    .sgpr_spill_count: 0
    .symbol:         _ZN7rocprim17ROCPRIM_400000_NS6detail17trampoline_kernelINS0_14default_configENS1_22reduce_config_selectorIfEEZNS1_11reduce_implILb1ES3_N6thrust23THRUST_200600_302600_NS11hip_rocprim26transform_input_iterator_tIfNS8_17counting_iteratorIiNS8_11use_defaultESC_SC_EE11estimate_piEEPffNS8_4plusIfEEEE10hipError_tPvRmT1_T2_T3_mT4_P12ihipStream_tbEUlT_E0_NS1_11comp_targetILNS1_3genE10ELNS1_11target_archE1200ELNS1_3gpuE4ELNS1_3repE0EEENS1_30default_config_static_selectorELNS0_4arch9wavefront6targetE0EEEvSM_.kd
    .uniform_work_group_size: 1
    .uses_dynamic_stack: false
    .vgpr_count:     0
    .vgpr_spill_count: 0
    .wavefront_size: 32
  - .args:
      - .offset:         0
        .size:           56
        .value_kind:     by_value
    .group_segment_fixed_size: 0
    .kernarg_segment_align: 8
    .kernarg_segment_size: 56
    .language:       OpenCL C
    .language_version:
      - 2
      - 0
    .max_flat_workgroup_size: 256
    .name:           _ZN7rocprim17ROCPRIM_400000_NS6detail17trampoline_kernelINS0_14default_configENS1_22reduce_config_selectorIfEEZNS1_11reduce_implILb1ES3_N6thrust23THRUST_200600_302600_NS11hip_rocprim26transform_input_iterator_tIfNS8_17counting_iteratorIiNS8_11use_defaultESC_SC_EE11estimate_piEEPffNS8_4plusIfEEEE10hipError_tPvRmT1_T2_T3_mT4_P12ihipStream_tbEUlT_E0_NS1_11comp_targetILNS1_3genE9ELNS1_11target_archE1100ELNS1_3gpuE3ELNS1_3repE0EEENS1_30default_config_static_selectorELNS0_4arch9wavefront6targetE0EEEvSM_
    .private_segment_fixed_size: 0
    .sgpr_count:     0
    .sgpr_spill_count: 0
    .symbol:         _ZN7rocprim17ROCPRIM_400000_NS6detail17trampoline_kernelINS0_14default_configENS1_22reduce_config_selectorIfEEZNS1_11reduce_implILb1ES3_N6thrust23THRUST_200600_302600_NS11hip_rocprim26transform_input_iterator_tIfNS8_17counting_iteratorIiNS8_11use_defaultESC_SC_EE11estimate_piEEPffNS8_4plusIfEEEE10hipError_tPvRmT1_T2_T3_mT4_P12ihipStream_tbEUlT_E0_NS1_11comp_targetILNS1_3genE9ELNS1_11target_archE1100ELNS1_3gpuE3ELNS1_3repE0EEENS1_30default_config_static_selectorELNS0_4arch9wavefront6targetE0EEEvSM_.kd
    .uniform_work_group_size: 1
    .uses_dynamic_stack: false
    .vgpr_count:     0
    .vgpr_spill_count: 0
    .wavefront_size: 32
  - .args:
      - .offset:         0
        .size:           56
        .value_kind:     by_value
    .group_segment_fixed_size: 0
    .kernarg_segment_align: 8
    .kernarg_segment_size: 56
    .language:       OpenCL C
    .language_version:
      - 2
      - 0
    .max_flat_workgroup_size: 256
    .name:           _ZN7rocprim17ROCPRIM_400000_NS6detail17trampoline_kernelINS0_14default_configENS1_22reduce_config_selectorIfEEZNS1_11reduce_implILb1ES3_N6thrust23THRUST_200600_302600_NS11hip_rocprim26transform_input_iterator_tIfNS8_17counting_iteratorIiNS8_11use_defaultESC_SC_EE11estimate_piEEPffNS8_4plusIfEEEE10hipError_tPvRmT1_T2_T3_mT4_P12ihipStream_tbEUlT_E0_NS1_11comp_targetILNS1_3genE8ELNS1_11target_archE1030ELNS1_3gpuE2ELNS1_3repE0EEENS1_30default_config_static_selectorELNS0_4arch9wavefront6targetE0EEEvSM_
    .private_segment_fixed_size: 0
    .sgpr_count:     0
    .sgpr_spill_count: 0
    .symbol:         _ZN7rocprim17ROCPRIM_400000_NS6detail17trampoline_kernelINS0_14default_configENS1_22reduce_config_selectorIfEEZNS1_11reduce_implILb1ES3_N6thrust23THRUST_200600_302600_NS11hip_rocprim26transform_input_iterator_tIfNS8_17counting_iteratorIiNS8_11use_defaultESC_SC_EE11estimate_piEEPffNS8_4plusIfEEEE10hipError_tPvRmT1_T2_T3_mT4_P12ihipStream_tbEUlT_E0_NS1_11comp_targetILNS1_3genE8ELNS1_11target_archE1030ELNS1_3gpuE2ELNS1_3repE0EEENS1_30default_config_static_selectorELNS0_4arch9wavefront6targetE0EEEvSM_.kd
    .uniform_work_group_size: 1
    .uses_dynamic_stack: false
    .vgpr_count:     0
    .vgpr_spill_count: 0
    .wavefront_size: 32
  - .args:
      - .offset:         0
        .size:           40
        .value_kind:     by_value
    .group_segment_fixed_size: 224
    .kernarg_segment_align: 8
    .kernarg_segment_size: 40
    .language:       OpenCL C
    .language_version:
      - 2
      - 0
    .max_flat_workgroup_size: 256
    .name:           _ZN7rocprim17ROCPRIM_400000_NS6detail17trampoline_kernelINS0_14default_configENS1_22reduce_config_selectorIfEEZNS1_11reduce_implILb1ES3_N6thrust23THRUST_200600_302600_NS11hip_rocprim26transform_input_iterator_tIfNS8_17counting_iteratorIiNS8_11use_defaultESC_SC_EE11estimate_piEEPffNS8_4plusIfEEEE10hipError_tPvRmT1_T2_T3_mT4_P12ihipStream_tbEUlT_E1_NS1_11comp_targetILNS1_3genE0ELNS1_11target_archE4294967295ELNS1_3gpuE0ELNS1_3repE0EEENS1_30default_config_static_selectorELNS0_4arch9wavefront6targetE0EEEvSM_
    .private_segment_fixed_size: 0
    .sgpr_count:     51
    .sgpr_spill_count: 0
    .symbol:         _ZN7rocprim17ROCPRIM_400000_NS6detail17trampoline_kernelINS0_14default_configENS1_22reduce_config_selectorIfEEZNS1_11reduce_implILb1ES3_N6thrust23THRUST_200600_302600_NS11hip_rocprim26transform_input_iterator_tIfNS8_17counting_iteratorIiNS8_11use_defaultESC_SC_EE11estimate_piEEPffNS8_4plusIfEEEE10hipError_tPvRmT1_T2_T3_mT4_P12ihipStream_tbEUlT_E1_NS1_11comp_targetILNS1_3genE0ELNS1_11target_archE4294967295ELNS1_3gpuE0ELNS1_3repE0EEENS1_30default_config_static_selectorELNS0_4arch9wavefront6targetE0EEEvSM_.kd
    .uniform_work_group_size: 1
    .uses_dynamic_stack: false
    .vgpr_count:     62
    .vgpr_spill_count: 0
    .wavefront_size: 32
  - .args:
      - .offset:         0
        .size:           40
        .value_kind:     by_value
    .group_segment_fixed_size: 0
    .kernarg_segment_align: 8
    .kernarg_segment_size: 40
    .language:       OpenCL C
    .language_version:
      - 2
      - 0
    .max_flat_workgroup_size: 128
    .name:           _ZN7rocprim17ROCPRIM_400000_NS6detail17trampoline_kernelINS0_14default_configENS1_22reduce_config_selectorIfEEZNS1_11reduce_implILb1ES3_N6thrust23THRUST_200600_302600_NS11hip_rocprim26transform_input_iterator_tIfNS8_17counting_iteratorIiNS8_11use_defaultESC_SC_EE11estimate_piEEPffNS8_4plusIfEEEE10hipError_tPvRmT1_T2_T3_mT4_P12ihipStream_tbEUlT_E1_NS1_11comp_targetILNS1_3genE5ELNS1_11target_archE942ELNS1_3gpuE9ELNS1_3repE0EEENS1_30default_config_static_selectorELNS0_4arch9wavefront6targetE0EEEvSM_
    .private_segment_fixed_size: 0
    .sgpr_count:     0
    .sgpr_spill_count: 0
    .symbol:         _ZN7rocprim17ROCPRIM_400000_NS6detail17trampoline_kernelINS0_14default_configENS1_22reduce_config_selectorIfEEZNS1_11reduce_implILb1ES3_N6thrust23THRUST_200600_302600_NS11hip_rocprim26transform_input_iterator_tIfNS8_17counting_iteratorIiNS8_11use_defaultESC_SC_EE11estimate_piEEPffNS8_4plusIfEEEE10hipError_tPvRmT1_T2_T3_mT4_P12ihipStream_tbEUlT_E1_NS1_11comp_targetILNS1_3genE5ELNS1_11target_archE942ELNS1_3gpuE9ELNS1_3repE0EEENS1_30default_config_static_selectorELNS0_4arch9wavefront6targetE0EEEvSM_.kd
    .uniform_work_group_size: 1
    .uses_dynamic_stack: false
    .vgpr_count:     0
    .vgpr_spill_count: 0
    .wavefront_size: 32
  - .args:
      - .offset:         0
        .size:           40
        .value_kind:     by_value
    .group_segment_fixed_size: 0
    .kernarg_segment_align: 8
    .kernarg_segment_size: 40
    .language:       OpenCL C
    .language_version:
      - 2
      - 0
    .max_flat_workgroup_size: 128
    .name:           _ZN7rocprim17ROCPRIM_400000_NS6detail17trampoline_kernelINS0_14default_configENS1_22reduce_config_selectorIfEEZNS1_11reduce_implILb1ES3_N6thrust23THRUST_200600_302600_NS11hip_rocprim26transform_input_iterator_tIfNS8_17counting_iteratorIiNS8_11use_defaultESC_SC_EE11estimate_piEEPffNS8_4plusIfEEEE10hipError_tPvRmT1_T2_T3_mT4_P12ihipStream_tbEUlT_E1_NS1_11comp_targetILNS1_3genE4ELNS1_11target_archE910ELNS1_3gpuE8ELNS1_3repE0EEENS1_30default_config_static_selectorELNS0_4arch9wavefront6targetE0EEEvSM_
    .private_segment_fixed_size: 0
    .sgpr_count:     0
    .sgpr_spill_count: 0
    .symbol:         _ZN7rocprim17ROCPRIM_400000_NS6detail17trampoline_kernelINS0_14default_configENS1_22reduce_config_selectorIfEEZNS1_11reduce_implILb1ES3_N6thrust23THRUST_200600_302600_NS11hip_rocprim26transform_input_iterator_tIfNS8_17counting_iteratorIiNS8_11use_defaultESC_SC_EE11estimate_piEEPffNS8_4plusIfEEEE10hipError_tPvRmT1_T2_T3_mT4_P12ihipStream_tbEUlT_E1_NS1_11comp_targetILNS1_3genE4ELNS1_11target_archE910ELNS1_3gpuE8ELNS1_3repE0EEENS1_30default_config_static_selectorELNS0_4arch9wavefront6targetE0EEEvSM_.kd
    .uniform_work_group_size: 1
    .uses_dynamic_stack: false
    .vgpr_count:     0
    .vgpr_spill_count: 0
    .wavefront_size: 32
  - .args:
      - .offset:         0
        .size:           40
        .value_kind:     by_value
    .group_segment_fixed_size: 0
    .kernarg_segment_align: 8
    .kernarg_segment_size: 40
    .language:       OpenCL C
    .language_version:
      - 2
      - 0
    .max_flat_workgroup_size: 256
    .name:           _ZN7rocprim17ROCPRIM_400000_NS6detail17trampoline_kernelINS0_14default_configENS1_22reduce_config_selectorIfEEZNS1_11reduce_implILb1ES3_N6thrust23THRUST_200600_302600_NS11hip_rocprim26transform_input_iterator_tIfNS8_17counting_iteratorIiNS8_11use_defaultESC_SC_EE11estimate_piEEPffNS8_4plusIfEEEE10hipError_tPvRmT1_T2_T3_mT4_P12ihipStream_tbEUlT_E1_NS1_11comp_targetILNS1_3genE3ELNS1_11target_archE908ELNS1_3gpuE7ELNS1_3repE0EEENS1_30default_config_static_selectorELNS0_4arch9wavefront6targetE0EEEvSM_
    .private_segment_fixed_size: 0
    .sgpr_count:     0
    .sgpr_spill_count: 0
    .symbol:         _ZN7rocprim17ROCPRIM_400000_NS6detail17trampoline_kernelINS0_14default_configENS1_22reduce_config_selectorIfEEZNS1_11reduce_implILb1ES3_N6thrust23THRUST_200600_302600_NS11hip_rocprim26transform_input_iterator_tIfNS8_17counting_iteratorIiNS8_11use_defaultESC_SC_EE11estimate_piEEPffNS8_4plusIfEEEE10hipError_tPvRmT1_T2_T3_mT4_P12ihipStream_tbEUlT_E1_NS1_11comp_targetILNS1_3genE3ELNS1_11target_archE908ELNS1_3gpuE7ELNS1_3repE0EEENS1_30default_config_static_selectorELNS0_4arch9wavefront6targetE0EEEvSM_.kd
    .uniform_work_group_size: 1
    .uses_dynamic_stack: false
    .vgpr_count:     0
    .vgpr_spill_count: 0
    .wavefront_size: 32
  - .args:
      - .offset:         0
        .size:           40
        .value_kind:     by_value
    .group_segment_fixed_size: 0
    .kernarg_segment_align: 8
    .kernarg_segment_size: 40
    .language:       OpenCL C
    .language_version:
      - 2
      - 0
    .max_flat_workgroup_size: 256
    .name:           _ZN7rocprim17ROCPRIM_400000_NS6detail17trampoline_kernelINS0_14default_configENS1_22reduce_config_selectorIfEEZNS1_11reduce_implILb1ES3_N6thrust23THRUST_200600_302600_NS11hip_rocprim26transform_input_iterator_tIfNS8_17counting_iteratorIiNS8_11use_defaultESC_SC_EE11estimate_piEEPffNS8_4plusIfEEEE10hipError_tPvRmT1_T2_T3_mT4_P12ihipStream_tbEUlT_E1_NS1_11comp_targetILNS1_3genE2ELNS1_11target_archE906ELNS1_3gpuE6ELNS1_3repE0EEENS1_30default_config_static_selectorELNS0_4arch9wavefront6targetE0EEEvSM_
    .private_segment_fixed_size: 0
    .sgpr_count:     0
    .sgpr_spill_count: 0
    .symbol:         _ZN7rocprim17ROCPRIM_400000_NS6detail17trampoline_kernelINS0_14default_configENS1_22reduce_config_selectorIfEEZNS1_11reduce_implILb1ES3_N6thrust23THRUST_200600_302600_NS11hip_rocprim26transform_input_iterator_tIfNS8_17counting_iteratorIiNS8_11use_defaultESC_SC_EE11estimate_piEEPffNS8_4plusIfEEEE10hipError_tPvRmT1_T2_T3_mT4_P12ihipStream_tbEUlT_E1_NS1_11comp_targetILNS1_3genE2ELNS1_11target_archE906ELNS1_3gpuE6ELNS1_3repE0EEENS1_30default_config_static_selectorELNS0_4arch9wavefront6targetE0EEEvSM_.kd
    .uniform_work_group_size: 1
    .uses_dynamic_stack: false
    .vgpr_count:     0
    .vgpr_spill_count: 0
    .wavefront_size: 32
  - .args:
      - .offset:         0
        .size:           40
        .value_kind:     by_value
    .group_segment_fixed_size: 0
    .kernarg_segment_align: 8
    .kernarg_segment_size: 40
    .language:       OpenCL C
    .language_version:
      - 2
      - 0
    .max_flat_workgroup_size: 256
    .name:           _ZN7rocprim17ROCPRIM_400000_NS6detail17trampoline_kernelINS0_14default_configENS1_22reduce_config_selectorIfEEZNS1_11reduce_implILb1ES3_N6thrust23THRUST_200600_302600_NS11hip_rocprim26transform_input_iterator_tIfNS8_17counting_iteratorIiNS8_11use_defaultESC_SC_EE11estimate_piEEPffNS8_4plusIfEEEE10hipError_tPvRmT1_T2_T3_mT4_P12ihipStream_tbEUlT_E1_NS1_11comp_targetILNS1_3genE10ELNS1_11target_archE1201ELNS1_3gpuE5ELNS1_3repE0EEENS1_30default_config_static_selectorELNS0_4arch9wavefront6targetE0EEEvSM_
    .private_segment_fixed_size: 0
    .sgpr_count:     0
    .sgpr_spill_count: 0
    .symbol:         _ZN7rocprim17ROCPRIM_400000_NS6detail17trampoline_kernelINS0_14default_configENS1_22reduce_config_selectorIfEEZNS1_11reduce_implILb1ES3_N6thrust23THRUST_200600_302600_NS11hip_rocprim26transform_input_iterator_tIfNS8_17counting_iteratorIiNS8_11use_defaultESC_SC_EE11estimate_piEEPffNS8_4plusIfEEEE10hipError_tPvRmT1_T2_T3_mT4_P12ihipStream_tbEUlT_E1_NS1_11comp_targetILNS1_3genE10ELNS1_11target_archE1201ELNS1_3gpuE5ELNS1_3repE0EEENS1_30default_config_static_selectorELNS0_4arch9wavefront6targetE0EEEvSM_.kd
    .uniform_work_group_size: 1
    .uses_dynamic_stack: false
    .vgpr_count:     0
    .vgpr_spill_count: 0
    .wavefront_size: 32
  - .args:
      - .offset:         0
        .size:           40
        .value_kind:     by_value
    .group_segment_fixed_size: 0
    .kernarg_segment_align: 8
    .kernarg_segment_size: 40
    .language:       OpenCL C
    .language_version:
      - 2
      - 0
    .max_flat_workgroup_size: 256
    .name:           _ZN7rocprim17ROCPRIM_400000_NS6detail17trampoline_kernelINS0_14default_configENS1_22reduce_config_selectorIfEEZNS1_11reduce_implILb1ES3_N6thrust23THRUST_200600_302600_NS11hip_rocprim26transform_input_iterator_tIfNS8_17counting_iteratorIiNS8_11use_defaultESC_SC_EE11estimate_piEEPffNS8_4plusIfEEEE10hipError_tPvRmT1_T2_T3_mT4_P12ihipStream_tbEUlT_E1_NS1_11comp_targetILNS1_3genE10ELNS1_11target_archE1200ELNS1_3gpuE4ELNS1_3repE0EEENS1_30default_config_static_selectorELNS0_4arch9wavefront6targetE0EEEvSM_
    .private_segment_fixed_size: 0
    .sgpr_count:     0
    .sgpr_spill_count: 0
    .symbol:         _ZN7rocprim17ROCPRIM_400000_NS6detail17trampoline_kernelINS0_14default_configENS1_22reduce_config_selectorIfEEZNS1_11reduce_implILb1ES3_N6thrust23THRUST_200600_302600_NS11hip_rocprim26transform_input_iterator_tIfNS8_17counting_iteratorIiNS8_11use_defaultESC_SC_EE11estimate_piEEPffNS8_4plusIfEEEE10hipError_tPvRmT1_T2_T3_mT4_P12ihipStream_tbEUlT_E1_NS1_11comp_targetILNS1_3genE10ELNS1_11target_archE1200ELNS1_3gpuE4ELNS1_3repE0EEENS1_30default_config_static_selectorELNS0_4arch9wavefront6targetE0EEEvSM_.kd
    .uniform_work_group_size: 1
    .uses_dynamic_stack: false
    .vgpr_count:     0
    .vgpr_spill_count: 0
    .wavefront_size: 32
  - .args:
      - .offset:         0
        .size:           40
        .value_kind:     by_value
    .group_segment_fixed_size: 0
    .kernarg_segment_align: 8
    .kernarg_segment_size: 40
    .language:       OpenCL C
    .language_version:
      - 2
      - 0
    .max_flat_workgroup_size: 256
    .name:           _ZN7rocprim17ROCPRIM_400000_NS6detail17trampoline_kernelINS0_14default_configENS1_22reduce_config_selectorIfEEZNS1_11reduce_implILb1ES3_N6thrust23THRUST_200600_302600_NS11hip_rocprim26transform_input_iterator_tIfNS8_17counting_iteratorIiNS8_11use_defaultESC_SC_EE11estimate_piEEPffNS8_4plusIfEEEE10hipError_tPvRmT1_T2_T3_mT4_P12ihipStream_tbEUlT_E1_NS1_11comp_targetILNS1_3genE9ELNS1_11target_archE1100ELNS1_3gpuE3ELNS1_3repE0EEENS1_30default_config_static_selectorELNS0_4arch9wavefront6targetE0EEEvSM_
    .private_segment_fixed_size: 0
    .sgpr_count:     0
    .sgpr_spill_count: 0
    .symbol:         _ZN7rocprim17ROCPRIM_400000_NS6detail17trampoline_kernelINS0_14default_configENS1_22reduce_config_selectorIfEEZNS1_11reduce_implILb1ES3_N6thrust23THRUST_200600_302600_NS11hip_rocprim26transform_input_iterator_tIfNS8_17counting_iteratorIiNS8_11use_defaultESC_SC_EE11estimate_piEEPffNS8_4plusIfEEEE10hipError_tPvRmT1_T2_T3_mT4_P12ihipStream_tbEUlT_E1_NS1_11comp_targetILNS1_3genE9ELNS1_11target_archE1100ELNS1_3gpuE3ELNS1_3repE0EEENS1_30default_config_static_selectorELNS0_4arch9wavefront6targetE0EEEvSM_.kd
    .uniform_work_group_size: 1
    .uses_dynamic_stack: false
    .vgpr_count:     0
    .vgpr_spill_count: 0
    .wavefront_size: 32
  - .args:
      - .offset:         0
        .size:           40
        .value_kind:     by_value
    .group_segment_fixed_size: 0
    .kernarg_segment_align: 8
    .kernarg_segment_size: 40
    .language:       OpenCL C
    .language_version:
      - 2
      - 0
    .max_flat_workgroup_size: 256
    .name:           _ZN7rocprim17ROCPRIM_400000_NS6detail17trampoline_kernelINS0_14default_configENS1_22reduce_config_selectorIfEEZNS1_11reduce_implILb1ES3_N6thrust23THRUST_200600_302600_NS11hip_rocprim26transform_input_iterator_tIfNS8_17counting_iteratorIiNS8_11use_defaultESC_SC_EE11estimate_piEEPffNS8_4plusIfEEEE10hipError_tPvRmT1_T2_T3_mT4_P12ihipStream_tbEUlT_E1_NS1_11comp_targetILNS1_3genE8ELNS1_11target_archE1030ELNS1_3gpuE2ELNS1_3repE0EEENS1_30default_config_static_selectorELNS0_4arch9wavefront6targetE0EEEvSM_
    .private_segment_fixed_size: 0
    .sgpr_count:     0
    .sgpr_spill_count: 0
    .symbol:         _ZN7rocprim17ROCPRIM_400000_NS6detail17trampoline_kernelINS0_14default_configENS1_22reduce_config_selectorIfEEZNS1_11reduce_implILb1ES3_N6thrust23THRUST_200600_302600_NS11hip_rocprim26transform_input_iterator_tIfNS8_17counting_iteratorIiNS8_11use_defaultESC_SC_EE11estimate_piEEPffNS8_4plusIfEEEE10hipError_tPvRmT1_T2_T3_mT4_P12ihipStream_tbEUlT_E1_NS1_11comp_targetILNS1_3genE8ELNS1_11target_archE1030ELNS1_3gpuE2ELNS1_3repE0EEENS1_30default_config_static_selectorELNS0_4arch9wavefront6targetE0EEEvSM_.kd
    .uniform_work_group_size: 1
    .uses_dynamic_stack: false
    .vgpr_count:     0
    .vgpr_spill_count: 0
    .wavefront_size: 32
amdhsa.target:   amdgcn-amd-amdhsa--gfx1250
amdhsa.version:
  - 1
  - 2
...

	.end_amdgpu_metadata
